;; amdgpu-corpus repo=ROCm/rocFFT kind=compiled arch=gfx1030 opt=O3
	.text
	.amdgcn_target "amdgcn-amd-amdhsa--gfx1030"
	.amdhsa_code_object_version 6
	.protected	bluestein_single_back_len882_dim1_sp_op_CI_CI ; -- Begin function bluestein_single_back_len882_dim1_sp_op_CI_CI
	.globl	bluestein_single_back_len882_dim1_sp_op_CI_CI
	.p2align	8
	.type	bluestein_single_back_len882_dim1_sp_op_CI_CI,@function
bluestein_single_back_len882_dim1_sp_op_CI_CI: ; @bluestein_single_back_len882_dim1_sp_op_CI_CI
; %bb.0:
	s_load_dwordx4 s[12:15], s[4:5], 0x28
	v_mul_u32_u24_e32 v1, 0x411, v0
	v_mov_b32_e32 v77, 0
	s_mov_b32 s0, exec_lo
	v_lshrrev_b32_e32 v1, 16, v1
	v_add_nc_u32_e32 v76, s6, v1
	s_waitcnt lgkmcnt(0)
	v_cmpx_gt_u64_e64 s[12:13], v[76:77]
	s_cbranch_execz .LBB0_15
; %bb.1:
	s_clause 0x1
	s_load_dwordx4 s[8:11], s[4:5], 0x18
	s_load_dwordx2 s[6:7], s[4:5], 0x0
	v_mul_lo_u16 v1, v1, 63
	v_sub_nc_u16 v26, v0, v1
	v_and_b32_e32 v114, 0xffff, v26
	v_lshlrev_b32_e32 v113, 3, v114
	s_waitcnt lgkmcnt(0)
	s_load_dwordx4 s[0:3], s[8:9], 0x0
	s_clause 0x2
	global_load_dwordx2 v[93:94], v113, s[6:7]
	global_load_dwordx2 v[87:88], v113, s[6:7] offset:784
	global_load_dwordx2 v[89:90], v113, s[6:7] offset:1568
	s_waitcnt lgkmcnt(0)
	v_mad_u64_u32 v[0:1], null, s2, v76, 0
	v_mad_u64_u32 v[2:3], null, s0, v114, 0
	v_add_co_u32 v74, s2, s6, v113
	v_add_co_ci_u32_e64 v75, null, s7, 0, s2
	s_mul_hi_u32 s6, s0, 0x62
	v_add_co_u32 v72, vcc_lo, 0x800, v74
	v_mad_u64_u32 v[4:5], null, s3, v76, v[1:2]
	v_add_co_ci_u32_e32 v73, vcc_lo, 0, v75, vcc_lo
	v_add_co_u32 v68, vcc_lo, 0x1000, v74
	v_add_co_ci_u32_e32 v69, vcc_lo, 0, v75, vcc_lo
	v_mad_u64_u32 v[5:6], null, s1, v114, v[3:4]
	v_mov_b32_e32 v1, v4
	v_add_co_u32 v70, vcc_lo, 0x1800, v74
	v_add_co_ci_u32_e32 v71, vcc_lo, 0, v75, vcc_lo
	v_lshlrev_b64 v[0:1], 3, v[0:1]
	v_mov_b32_e32 v3, v5
	s_mul_i32 s3, s1, 0x62
	s_mul_i32 s2, s0, 0x62
	s_add_i32 s3, s6, s3
	s_clause 0x3
	global_load_dwordx2 v[91:92], v[72:73], off offset:304
	global_load_dwordx2 v[81:82], v[72:73], off offset:1088
	;; [unrolled: 1-line block ×4, first 2 shown]
	v_lshlrev_b64 v[2:3], 3, v[2:3]
	v_add_co_u32 v0, vcc_lo, s14, v0
	v_add_co_ci_u32_e32 v1, vcc_lo, s15, v1, vcc_lo
	s_lshl_b64 s[6:7], s[2:3], 3
	v_add_co_u32 v0, vcc_lo, v0, v2
	v_add_co_ci_u32_e32 v1, vcc_lo, v1, v3, vcc_lo
	v_add_co_u32 v2, vcc_lo, v0, s6
	v_add_co_ci_u32_e32 v3, vcc_lo, s7, v1, vcc_lo
	global_load_dwordx2 v[6:7], v[0:1], off
	v_add_co_u32 v4, vcc_lo, v2, s6
	global_load_dwordx2 v[8:9], v[2:3], off
	v_add_co_ci_u32_e32 v5, vcc_lo, s7, v3, vcc_lo
	v_add_co_u32 v0, vcc_lo, v4, s6
	v_add_co_ci_u32_e32 v1, vcc_lo, s7, v5, vcc_lo
	v_add_co_u32 v2, vcc_lo, v0, s6
	s_clause 0x1
	global_load_dwordx2 v[10:11], v[4:5], off
	global_load_dwordx2 v[12:13], v[0:1], off
	v_add_co_ci_u32_e32 v3, vcc_lo, s7, v1, vcc_lo
	v_add_co_u32 v0, vcc_lo, v2, s6
	v_add_co_ci_u32_e32 v1, vcc_lo, s7, v3, vcc_lo
	global_load_dwordx2 v[14:15], v[2:3], off
	v_add_co_u32 v2, vcc_lo, v0, s6
	v_add_co_ci_u32_e32 v3, vcc_lo, s7, v1, vcc_lo
	global_load_dwordx2 v[16:17], v[0:1], off
	;; [unrolled: 3-line block ×4, first 2 shown]
	s_clause 0x1
	global_load_dwordx2 v[83:84], v[68:69], off offset:1392
	global_load_dwordx2 v[85:86], v[70:71], off offset:128
	global_load_dwordx2 v[22:23], v[0:1], off
	s_load_dwordx2 s[2:3], s[4:5], 0x38
	s_load_dwordx4 s[8:11], s[10:11], 0x0
	v_add_nc_u32_e32 v2, 0x400, v113
	v_add_nc_u32_e32 v3, 0x800, v113
	v_cmp_gt_u16_e32 vcc_lo, 35, v26
	s_waitcnt vmcnt(10)
	v_mul_f32_e32 v5, v7, v94
	v_mul_f32_e32 v4, v6, v94
	s_waitcnt vmcnt(9)
	v_mul_f32_e32 v24, v9, v88
	v_mul_f32_e32 v25, v8, v88
	v_fmac_f32_e32 v5, v6, v93
	v_fma_f32 v6, v7, v93, -v4
	v_add_nc_u32_e32 v4, 0x1000, v113
	v_fmac_f32_e32 v24, v8, v87
	v_fma_f32 v25, v9, v87, -v25
	s_waitcnt vmcnt(8)
	v_mul_f32_e32 v7, v11, v90
	v_mul_f32_e32 v8, v10, v90
	ds_write2_b64 v113, v[5:6], v[24:25] offset1:98
	s_waitcnt vmcnt(7)
	v_mul_f32_e32 v6, v12, v92
	v_mul_f32_e32 v9, v13, v92
	v_fmac_f32_e32 v7, v10, v89
	v_fma_f32 v8, v11, v89, -v8
	v_fma_f32 v10, v13, v91, -v6
	s_waitcnt vmcnt(6)
	v_mul_f32_e32 v5, v15, v82
	v_mul_f32_e32 v6, v14, v82
	v_fmac_f32_e32 v9, v12, v91
	s_waitcnt vmcnt(5)
	v_mul_f32_e32 v11, v17, v80
	v_mul_f32_e32 v12, v16, v80
	v_fmac_f32_e32 v5, v14, v81
	v_fma_f32 v6, v15, v81, -v6
	s_waitcnt vmcnt(4)
	v_mul_f32_e32 v13, v19, v78
	v_fmac_f32_e32 v11, v16, v79
	v_mul_f32_e32 v14, v18, v78
	s_waitcnt vmcnt(2)
	v_mul_f32_e32 v15, v21, v84
	v_mul_f32_e32 v16, v20, v84
	v_fma_f32 v12, v17, v79, -v12
	v_fmac_f32_e32 v13, v18, v77
	s_waitcnt vmcnt(0)
	v_mul_f32_e32 v17, v23, v86
	v_mul_f32_e32 v18, v22, v86
	v_fma_f32 v14, v19, v77, -v14
	v_fmac_f32_e32 v15, v20, v83
	v_fma_f32 v16, v21, v83, -v16
	v_fmac_f32_e32 v17, v22, v85
	v_fma_f32 v18, v23, v85, -v18
	ds_write2_b64 v2, v[7:8], v[9:10] offset0:68 offset1:166
	ds_write2_b64 v3, v[5:6], v[11:12] offset0:136 offset1:234
	;; [unrolled: 1-line block ×3, first 2 shown]
	ds_write_b64 v113, v[17:18] offset:6272
	s_and_saveexec_b32 s12, vcc_lo
	s_cbranch_execz .LBB0_3
; %bb.2:
	v_mad_u64_u32 v[0:1], null, 0xffffe978, s0, v[0:1]
	s_mulk_i32 s1, 0xe978
	s_clause 0x1
	global_load_dwordx2 v[5:6], v[74:75], off offset:504
	global_load_dwordx2 v[7:8], v[74:75], off offset:1288
	s_sub_i32 s0, s1, s0
	s_clause 0x1
	global_load_dwordx2 v[11:12], v[72:73], off offset:24
	global_load_dwordx2 v[13:14], v[72:73], off offset:808
	v_add_nc_u32_e32 v41, 0xc00, v113
	v_add_nc_u32_e32 v1, s0, v1
	v_add_co_u32 v9, s0, v0, s6
	v_add_co_ci_u32_e64 v10, s0, s7, v1, s0
	v_add_co_u32 v15, s0, v9, s6
	global_load_dwordx2 v[0:1], v[0:1], off
	v_add_co_ci_u32_e64 v16, s0, s7, v10, s0
	v_add_co_u32 v17, s0, v15, s6
	global_load_dwordx2 v[9:10], v[9:10], off
	;; [unrolled: 3-line block ×4, first 2 shown]
	v_add_co_ci_u32_e64 v22, s0, s7, v20, s0
	v_add_co_u32 v23, s0, v21, s6
	v_add_co_ci_u32_e64 v24, s0, s7, v22, s0
	s_clause 0x1
	global_load_dwordx2 v[25:26], v[72:73], off offset:1592
	global_load_dwordx2 v[27:28], v[68:69], off offset:328
	global_load_dwordx2 v[19:20], v[19:20], off
	global_load_dwordx2 v[21:22], v[21:22], off
	;; [unrolled: 1-line block ×3, first 2 shown]
	v_add_co_u32 v23, s0, v23, s6
	v_add_co_ci_u32_e64 v24, s0, s7, v24, s0
	global_load_dwordx2 v[31:32], v[68:69], off offset:1112
	v_add_co_u32 v33, s0, v23, s6
	v_add_co_ci_u32_e64 v34, s0, s7, v24, s0
	global_load_dwordx2 v[23:24], v[23:24], off
	s_clause 0x1
	global_load_dwordx2 v[35:36], v[68:69], off offset:1896
	global_load_dwordx2 v[37:38], v[70:71], off offset:632
	global_load_dwordx2 v[33:34], v[33:34], off
	s_waitcnt vmcnt(13)
	v_mul_f32_e32 v39, v1, v6
	v_mul_f32_e32 v40, v0, v6
	s_waitcnt vmcnt(12)
	v_mul_f32_e32 v6, v10, v8
	v_fmac_f32_e32 v39, v0, v5
	v_fma_f32 v40, v1, v5, -v40
	v_mul_f32_e32 v1, v9, v8
	s_waitcnt vmcnt(11)
	v_mul_f32_e32 v5, v15, v12
	v_fmac_f32_e32 v6, v9, v7
	v_mul_f32_e32 v0, v16, v12
	v_fma_f32 v7, v10, v7, -v1
	s_waitcnt vmcnt(10)
	v_mul_f32_e32 v8, v18, v14
	v_mul_f32_e32 v9, v17, v14
	v_fma_f32 v1, v16, v11, -v5
	v_fmac_f32_e32 v0, v15, v11
	v_fmac_f32_e32 v8, v17, v13
	s_waitcnt vmcnt(7)
	v_mul_f32_e32 v5, v19, v26
	v_mul_f32_e32 v10, v20, v26
	v_fma_f32 v9, v18, v13, -v9
	s_waitcnt vmcnt(6)
	v_mul_f32_e32 v12, v22, v28
	v_mul_f32_e32 v13, v21, v28
	v_fma_f32 v11, v20, v25, -v5
	v_fmac_f32_e32 v10, v19, v25
	s_waitcnt vmcnt(4)
	v_mul_f32_e32 v14, v30, v32
	v_mul_f32_e32 v5, v29, v32
	v_fmac_f32_e32 v12, v21, v27
	s_waitcnt vmcnt(2)
	v_mul_f32_e32 v16, v24, v36
	v_mul_f32_e32 v17, v23, v36
	s_waitcnt vmcnt(0)
	v_mul_f32_e32 v18, v34, v38
	v_mul_f32_e32 v19, v33, v38
	v_fma_f32 v13, v22, v27, -v13
	v_fmac_f32_e32 v14, v29, v31
	v_fma_f32 v15, v30, v31, -v5
	v_fmac_f32_e32 v16, v23, v35
	;; [unrolled: 2-line block ×3, first 2 shown]
	v_fma_f32 v19, v34, v37, -v19
	ds_write2_b64 v113, v[39:40], v[6:7] offset0:63 offset1:161
	ds_write2_b64 v3, v[0:1], v[8:9] offset0:3 offset1:101
	;; [unrolled: 1-line block ×4, first 2 shown]
	ds_write_b64 v113, v[18:19] offset:6776
.LBB0_3:
	s_or_b32 exec_lo, exec_lo, s12
	s_waitcnt lgkmcnt(0)
	s_barrier
	buffer_gl0_inv
	ds_read2_b64 v[8:11], v113 offset1:98
	ds_read2_b64 v[24:27], v2 offset0:68 offset1:166
	ds_read2_b64 v[20:23], v3 offset0:136 offset1:234
	;; [unrolled: 1-line block ×3, first 2 shown]
	ds_read_b64 v[34:35], v113 offset:6272
	s_load_dwordx2 s[0:1], s[4:5], 0x8
	v_mov_b32_e32 v2, 0
	v_mov_b32_e32 v3, 0
                                        ; implicit-def: $vgpr16
                                        ; implicit-def: $vgpr32
	v_mov_b32_e32 v13, v3
	v_mov_b32_e32 v15, v3
	;; [unrolled: 1-line block ×6, first 2 shown]
	s_and_saveexec_b32 s4, vcc_lo
	s_cbranch_execz .LBB0_5
; %bb.4:
	v_add_nc_u32_e32 v4, 0x800, v113
	v_add_nc_u32_e32 v5, 0xc00, v113
	;; [unrolled: 1-line block ×3, first 2 shown]
	ds_read2_b64 v[0:3], v113 offset0:63 offset1:161
	ds_read2_b64 v[12:15], v4 offset0:3 offset1:101
	;; [unrolled: 1-line block ×4, first 2 shown]
	ds_read_b64 v[32:33], v113 offset:6776
.LBB0_5:
	s_or_b32 exec_lo, exec_lo, s4
	s_waitcnt lgkmcnt(0)
	v_add_f32_e32 v44, v10, v34
	v_add_f32_e32 v45, v11, v35
	v_sub_f32_e32 v11, v11, v35
	v_sub_f32_e32 v10, v10, v34
	v_add_f32_e32 v46, v24, v30
	v_add_f32_e32 v47, v25, v31
	;; [unrolled: 1-line block ×3, first 2 shown]
	v_sub_f32_e32 v25, v25, v31
	v_mul_f32_e32 v31, 0x3f248dbb, v11
	v_sub_f32_e32 v26, v26, v28
	v_fmamk_f32 v28, v44, 0x3f441b7d, v8
	v_sub_f32_e32 v24, v24, v30
	v_mul_f32_e32 v30, 0x3f248dbb, v10
	v_sub_f32_e32 v49, v27, v29
	v_fmac_f32_e32 v31, 0x3f7c1c5c, v25
	v_add_f32_e32 v27, v27, v29
	v_fmamk_f32 v29, v45, 0x3f441b7d, v9
	v_fmac_f32_e32 v28, 0x3e31d0d4, v46
	v_sub_f32_e32 v51, v21, v23
	v_add_f32_e32 v52, v20, v22
	v_fmac_f32_e32 v30, 0x3f7c1c5c, v24
	v_fmac_f32_e32 v31, 0x3f5db3d7, v49
	v_fmac_f32_e32 v29, 0x3e31d0d4, v47
	v_fmac_f32_e32 v28, -0.5, v48
	v_mul_f32_e32 v40, 0xbf248dbb, v51
	v_fmamk_f32 v37, v52, 0x3f441b7d, v8
	v_fmac_f32_e32 v30, 0x3f5db3d7, v26
	v_sub_f32_e32 v50, v20, v22
	v_fmac_f32_e32 v31, 0x3eaf1d44, v51
	v_fmac_f32_e32 v29, -0.5, v27
	v_add_f32_e32 v53, v21, v23
	v_fmac_f32_e32 v28, 0xbf708fb2, v52
	v_fmac_f32_e32 v40, 0x3f7c1c5c, v11
	;; [unrolled: 1-line block ×5, first 2 shown]
	v_add_f32_e32 v34, v31, v28
	v_fmac_f32_e32 v40, 0xbf5db3d7, v49
	v_fmac_f32_e32 v37, -0.5, v48
	v_mul_f32_e32 v41, 0xbf248dbb, v50
	v_sub_f32_e32 v35, v29, v30
	v_fma_f32 v36, -2.0, v31, v34
	v_fmac_f32_e32 v40, 0x3eaf1d44, v25
	v_fmac_f32_e32 v37, 0xbf708fb2, v46
	v_add_f32_e32 v31, v46, v44
	v_add_f32_e32 v42, v48, v8
	v_fmac_f32_e32 v41, 0x3f7c1c5c, v10
	v_add_co_u32 v28, s4, v114, 63
	v_add_f32_e32 v38, v37, v40
	v_fma_f32 v37, 2.0, v30, v35
	v_add_f32_e32 v30, v51, v11
	v_add_f32_e32 v55, v52, v31
	v_add_co_ci_u32_e64 v29, null, 0, 0, s4
	v_fmac_f32_e32 v41, 0xbf5db3d7, v26
	v_sub_f32_e32 v30, v30, v25
	v_fmac_f32_e32 v42, -0.5, v55
	v_add_f32_e32 v29, v50, v10
	v_mul_f32_e32 v50, 0x3f7c1c5c, v50
	v_mul_f32_e32 v51, 0x3f7c1c5c, v51
	;; [unrolled: 1-line block ×3, first 2 shown]
	v_fmac_f32_e32 v42, 0x3f5db3d7, v30
	v_fmamk_f32 v30, v46, 0x3f441b7d, v8
	v_fmamk_f32 v46, v47, 0x3f441b7d, v9
	v_fmac_f32_e32 v41, 0x3eaf1d44, v24
	v_sub_f32_e32 v29, v29, v24
	v_add_f32_e32 v54, v47, v45
	v_fma_f32 v24, 0xbf248dbb, v24, -v50
	v_fma_f32 v25, 0xbf248dbb, v25, -v51
	v_fmac_f32_e32 v46, 0x3e31d0d4, v53
	v_fmamk_f32 v39, v53, 0x3f441b7d, v9
	v_fmac_f32_e32 v30, 0x3e31d0d4, v52
	v_fmac_f32_e32 v24, 0x3f5db3d7, v26
	;; [unrolled: 1-line block ×3, first 2 shown]
	v_add_f32_e32 v26, v27, v54
	v_fmac_f32_e32 v46, -0.5, v27
	v_fmac_f32_e32 v39, 0x3e31d0d4, v45
	v_fmac_f32_e32 v24, 0x3eaf1d44, v10
	v_add_f32_e32 v10, v48, v31
	v_fmac_f32_e32 v30, -0.5, v48
	v_fmac_f32_e32 v25, 0x3eaf1d44, v11
	v_add_f32_e32 v11, v21, v26
	v_fmac_f32_e32 v46, 0xbf708fb2, v45
	v_fmac_f32_e32 v39, -0.5, v27
	v_add_f32_e32 v43, v27, v9
	v_add_f32_e32 v57, v53, v54
	;; [unrolled: 1-line block ×3, first 2 shown]
	v_fmac_f32_e32 v30, 0xbf708fb2, v44
	v_add_f32_e32 v11, v23, v11
	v_sub_f32_e32 v23, v46, v24
	v_fmac_f32_e32 v39, 0xbf708fb2, v47
	v_fmac_f32_e32 v43, -0.5, v57
	v_add_f32_e32 v10, v22, v10
	v_add_f32_e32 v22, v25, v30
	v_fma_f32 v47, 2.0, v24, v23
	v_add_f32_e32 v24, v32, v2
	v_add_f32_e32 v30, v19, v13
	v_sub_f32_e32 v13, v13, v19
	v_mul_f32_e32 v56, 0x3f5db3d7, v29
	v_fmac_f32_e32 v43, 0xbf5db3d7, v29
	v_add_f32_e32 v44, v10, v8
	v_sub_f32_e32 v29, v12, v18
	v_add_f32_e32 v12, v18, v12
	v_sub_f32_e32 v19, v2, v32
	v_sub_f32_e32 v31, v3, v33
	v_mul_f32_e32 v8, 0x3f7c1c5c, v13
	v_fmamk_f32 v2, v24, 0x3f441b7d, v0
	v_sub_f32_e32 v48, v5, v7
	v_add_f32_e32 v49, v6, v4
	v_add_f32_e32 v45, v11, v9
	v_fma_f32 v46, -2.0, v25, v22
	v_add_f32_e32 v25, v33, v3
	v_add_f32_e32 v18, v16, v14
	v_sub_f32_e32 v32, v14, v16
	v_sub_f32_e32 v33, v15, v17
	v_fmac_f32_e32 v8, 0x3f248dbb, v31
	v_add_f32_e32 v14, v17, v15
	v_fmac_f32_e32 v2, 0x3e31d0d4, v12
	v_sub_f32_e32 v17, v4, v6
	v_add_f32_e32 v50, v7, v5
	v_mul_f32_e32 v15, 0xbf248dbb, v48
	v_fmamk_f32 v9, v49, 0x3f441b7d, v0
	v_fmac_f32_e32 v8, 0x3f5db3d7, v33
	v_fmac_f32_e32 v2, -0.5, v18
	v_mul_f32_e32 v11, 0xbf248dbb, v17
	v_fmamk_f32 v16, v50, 0x3f441b7d, v1
	v_fmac_f32_e32 v15, 0x3f7c1c5c, v31
	v_fmac_f32_e32 v9, 0x3e31d0d4, v24
	v_mul_f32_e32 v10, 0x3f7c1c5c, v29
	v_fmamk_f32 v3, v25, 0x3f441b7d, v1
	v_fmac_f32_e32 v8, 0x3eaf1d44, v48
	v_fmac_f32_e32 v2, 0xbf708fb2, v49
	;; [unrolled: 1-line block ×5, first 2 shown]
	v_fmac_f32_e32 v9, -0.5, v18
	v_fmac_f32_e32 v10, 0x3f248dbb, v19
	v_fmac_f32_e32 v3, 0x3e31d0d4, v30
	v_add_f32_e32 v2, v2, v8
	v_fmac_f32_e32 v11, 0xbf5db3d7, v32
	v_fmac_f32_e32 v16, -0.5, v14
	v_fmac_f32_e32 v15, 0x3eaf1d44, v13
	v_fmac_f32_e32 v9, 0xbf708fb2, v12
	;; [unrolled: 1-line block ×3, first 2 shown]
	v_fmac_f32_e32 v3, -0.5, v14
	v_fmac_f32_e32 v11, 0x3eaf1d44, v29
	v_fmac_f32_e32 v16, 0xbf708fb2, v30
	v_add_f32_e32 v26, v19, v17
	v_fma_f32 v95, -2.0, v8, v2
	v_add_f32_e32 v8, v15, v9
	v_fmac_f32_e32 v10, 0x3eaf1d44, v17
	v_fmac_f32_e32 v3, 0xbf708fb2, v50
	v_add_f32_e32 v27, v31, v48
	v_sub_f32_e32 v9, v16, v11
	v_sub_f32_e32 v51, v26, v29
	v_fma_f32 v26, -2.0, v15, v8
	v_add_f32_e32 v15, v24, v12
	v_add_f32_e32 v16, v25, v30
	v_mul_f32_e32 v48, 0x3f7c1c5c, v48
	v_fmamk_f32 v12, v12, 0x3f441b7d, v0
	v_mul_f32_e32 v17, 0x3f7c1c5c, v17
	v_fmamk_f32 v30, v30, 0x3f441b7d, v1
	v_sub_f32_e32 v3, v3, v10
	v_fma_f32 v48, 0xbf248dbb, v13, -v48
	v_fmac_f32_e32 v12, 0x3e31d0d4, v49
	v_fma_f32 v17, 0xbf248dbb, v29, -v17
	v_fmac_f32_e32 v30, 0x3e31d0d4, v50
	v_fma_f32 v20, -2.0, v55, v42
	v_fma_f32 v21, 2.0, v56, v43
	v_fma_f32 v96, 2.0, v10, v3
	v_sub_f32_e32 v52, v27, v13
	v_fma_f32 v27, 2.0, v11, v9
	v_add_f32_e32 v10, v0, v18
	v_add_f32_e32 v11, v1, v14
	;; [unrolled: 1-line block ×4, first 2 shown]
	v_fmac_f32_e32 v48, 0x3f5db3d7, v33
	v_fmac_f32_e32 v12, -0.5, v18
	v_fmac_f32_e32 v17, 0x3f5db3d7, v32
	v_fmac_f32_e32 v30, -0.5, v14
	v_fmac_f32_e32 v10, -0.5, v55
	;; [unrolled: 1-line block ×3, first 2 shown]
	v_fmac_f32_e32 v48, 0x3eaf1d44, v31
	v_fmac_f32_e32 v12, 0xbf708fb2, v24
	;; [unrolled: 1-line block ×4, first 2 shown]
	v_mul_f32_e32 v53, 0x3f5db3d7, v51
	v_mul_f32_e32 v54, 0x3f5db3d7, v52
	v_fmac_f32_e32 v10, 0x3f5db3d7, v52
	v_fmac_f32_e32 v11, 0xbf5db3d7, v51
	v_add_f32_e32 v12, v12, v48
	v_mul_lo_u16 v19, v114, 9
	v_mov_b32_e32 v29, 3
	v_sub_f32_e32 v13, v30, v17
	v_sub_f32_e32 v39, v39, v41
	v_fma_f32 v24, -2.0, v54, v10
	v_fma_f32 v25, 2.0, v53, v11
	v_fma_f32 v30, -2.0, v48, v12
	v_lshlrev_b32_sdwa v118, v29, v19 dst_sel:DWORD dst_unused:UNUSED_PAD src0_sel:DWORD src1_sel:WORD_0
	v_fma_f32 v31, 2.0, v17, v13
	v_mul_u32_u24_e32 v115, 9, v28
	v_fma_f32 v40, -2.0, v40, v38
	v_fma_f32 v41, 2.0, v41, v39
	s_barrier
	buffer_gl0_inv
	ds_write2_b64 v118, v[44:45], v[34:35] offset1:1
	ds_write2_b64 v118, v[38:39], v[42:43] offset0:2 offset1:3
	ds_write2_b64 v118, v[22:23], v[46:47] offset0:4 offset1:5
	;; [unrolled: 1-line block ×3, first 2 shown]
	ds_write_b64 v118, v[36:37] offset:64
	s_and_saveexec_b32 s4, vcc_lo
	s_cbranch_execz .LBB0_7
; %bb.6:
	v_add_f32_e32 v14, v16, v14
	v_add_f32_e32 v15, v15, v18
	;; [unrolled: 1-line block ×6, first 2 shown]
	v_lshlrev_b32_e32 v6, 3, v115
	v_add_f32_e32 v1, v1, v5
	v_add_f32_e32 v0, v0, v4
	ds_write2_b64 v6, v[8:9], v[10:11] offset0:2 offset1:3
	ds_write2_b64 v6, v[12:13], v[30:31] offset0:4 offset1:5
	ds_write2_b64 v6, v[24:25], v[26:27] offset0:6 offset1:7
	ds_write2_b64 v6, v[0:1], v[2:3] offset1:1
	ds_write_b64 v6, v[95:96] offset:64
.LBB0_7:
	s_or_b32 exec_lo, exec_lo, s4
	v_and_b32_e32 v0, 0xff, v114
	s_waitcnt lgkmcnt(0)
	s_barrier
	buffer_gl0_inv
	v_add_nc_u32_e32 v57, 0x400, v113
	v_mul_lo_u16 v0, v0, 57
	v_add_nc_u32_e32 v56, 0x800, v113
	v_add_nc_u32_e32 v54, 0xc00, v113
	;; [unrolled: 1-line block ×4, first 2 shown]
	v_lshrrev_b16 v29, 9, v0
	v_and_b32_e32 v0, 0xff, v28
	v_mul_lo_u16 v1, v29, 9
	v_mul_lo_u16 v0, v0, 57
	v_sub_nc_u16 v1, v114, v1
	v_lshrrev_b16 v52, 9, v0
	v_and_b32_e32 v53, 0xff, v1
	v_mul_lo_u16 v0, v52, 9
	v_mul_u32_u24_e32 v1, 6, v53
	v_sub_nc_u16 v0, v28, v0
	v_mov_b32_e32 v28, 63
	v_lshlrev_b32_e32 v1, 3, v1
	v_and_b32_e32 v62, 0xff, v0
	v_mul_u32_u24_sdwa v63, v29, v28 dst_sel:DWORD dst_unused:UNUSED_PAD src0_sel:WORD_0 src1_sel:DWORD
	v_mul_u32_u24_sdwa v52, v52, v28 dst_sel:DWORD dst_unused:UNUSED_PAD src0_sel:WORD_0 src1_sel:DWORD
	v_mad_u64_u32 v[28:29], null, v114, 48, s[0:1]
	v_mul_u32_u24_e32 v0, 6, v62
	s_clause 0x1
	global_load_dwordx4 v[20:23], v1, s[0:1]
	global_load_dwordx4 v[16:19], v1, s[0:1] offset:16
	v_add_lshl_u32 v117, v63, v53, 3
	v_add_lshl_u32 v116, v52, v62, 3
	v_lshlrev_b32_e32 v0, 3, v0
	s_clause 0x3
	global_load_dwordx4 v[12:15], v1, s[0:1] offset:32
	global_load_dwordx4 v[8:11], v0, s[0:1]
	global_load_dwordx4 v[4:7], v0, s[0:1] offset:16
	global_load_dwordx4 v[0:3], v0, s[0:1] offset:32
	ds_read2_b64 v[32:35], v113 offset0:126 offset1:189
	ds_read2_b64 v[36:39], v57 offset0:124 offset1:187
	;; [unrolled: 1-line block ×6, first 2 shown]
	ds_read2_b64 v[97:100], v113 offset1:63
	s_waitcnt vmcnt(0) lgkmcnt(0)
	s_barrier
	buffer_gl0_inv
	v_mul_f32_e32 v52, v33, v21
	v_mul_f32_e32 v53, v32, v21
	;; [unrolled: 1-line block ×24, first 2 shown]
	v_fma_f32 v32, v32, v20, -v52
	v_fmac_f32_e32 v53, v33, v20
	v_fma_f32 v33, v36, v22, -v62
	v_fmac_f32_e32 v63, v37, v22
	;; [unrolled: 2-line block ×12, first 2 shown]
	v_add_f32_e32 v44, v32, v41
	v_add_f32_e32 v45, v53, v105
	;; [unrolled: 1-line block ×4, first 2 shown]
	v_sub_f32_e32 v32, v32, v41
	v_sub_f32_e32 v41, v53, v105
	;; [unrolled: 1-line block ×4, first 2 shown]
	v_add_f32_e32 v48, v36, v37
	v_add_f32_e32 v49, v66, v101
	v_sub_f32_e32 v36, v37, v36
	v_sub_f32_e32 v37, v101, v66
	v_add_f32_e32 v50, v34, v43
	v_add_f32_e32 v51, v107, v123
	;; [unrolled: 1-line block ×4, first 2 shown]
	v_sub_f32_e32 v34, v34, v43
	v_sub_f32_e32 v43, v107, v123
	;; [unrolled: 1-line block ×4, first 2 shown]
	v_add_f32_e32 v58, v38, v39
	v_add_f32_e32 v59, v111, v119
	v_sub_f32_e32 v38, v39, v38
	v_sub_f32_e32 v39, v119, v111
	v_add_f32_e32 v60, v46, v44
	v_add_f32_e32 v61, v47, v45
	v_sub_f32_e32 v62, v46, v44
	v_sub_f32_e32 v63, v47, v45
	;; [unrolled: 1-line block ×5, first 2 shown]
	v_add_f32_e32 v65, v36, v33
	v_add_f32_e32 v66, v37, v40
	v_sub_f32_e32 v67, v36, v33
	v_sub_f32_e32 v101, v37, v40
	;; [unrolled: 1-line block ×4, first 2 shown]
	v_add_f32_e32 v33, v52, v50
	v_add_f32_e32 v103, v53, v51
	v_sub_f32_e32 v47, v49, v47
	v_sub_f32_e32 v104, v52, v50
	;; [unrolled: 1-line block ×7, first 2 shown]
	v_add_f32_e32 v106, v38, v35
	v_add_f32_e32 v107, v39, v42
	v_sub_f32_e32 v108, v38, v35
	v_sub_f32_e32 v109, v39, v42
	;; [unrolled: 1-line block ×4, first 2 shown]
	v_add_f32_e32 v48, v48, v60
	v_add_f32_e32 v49, v49, v61
	v_sub_f32_e32 v37, v41, v37
	v_add_f32_e32 v41, v66, v41
	v_mul_f32_e32 v35, 0x3f4a47b2, v44
	v_mul_f32_e32 v44, 0x3f4a47b2, v45
	;; [unrolled: 1-line block ×5, first 2 shown]
	v_add_f32_e32 v58, v58, v33
	v_add_f32_e32 v59, v59, v103
	v_sub_f32_e32 v36, v32, v36
	v_sub_f32_e32 v38, v34, v38
	;; [unrolled: 1-line block ×3, first 2 shown]
	v_add_f32_e32 v60, v65, v32
	v_mul_f32_e32 v61, 0x3d64c772, v47
	v_mul_f32_e32 v65, 0xbf08b237, v67
	;; [unrolled: 1-line block ×3, first 2 shown]
	v_add_f32_e32 v103, v106, v34
	v_add_f32_e32 v43, v107, v43
	v_mul_f32_e32 v50, 0x3f4a47b2, v50
	v_mul_f32_e32 v51, 0x3f4a47b2, v51
	;; [unrolled: 1-line block ×8, first 2 shown]
	v_add_f32_e32 v32, v97, v48
	v_add_f32_e32 v33, v98, v49
	v_fmamk_f32 v46, v46, 0x3d64c772, v35
	v_fma_f32 v45, 0x3f3bfb3b, v62, -v45
	v_fma_f32 v62, 0xbf3bfb3b, v62, -v35
	v_fmamk_f32 v97, v37, 0x3eae86e6, v66
	v_fma_f32 v66, 0x3f5ff5aa, v40, -v66
	v_fma_f32 v98, 0xbeae86e6, v37, -v101
	v_add_f32_e32 v34, v99, v58
	v_add_f32_e32 v35, v100, v59
	v_fmamk_f32 v47, v47, 0x3d64c772, v44
	v_fma_f32 v61, 0x3f3bfb3b, v63, -v61
	v_fma_f32 v44, 0xbf3bfb3b, v63, -v44
	v_fmamk_f32 v63, v36, 0x3eae86e6, v65
	v_fma_f32 v67, 0xbeae86e6, v36, -v67
	v_fmamk_f32 v36, v52, 0x3d64c772, v50
	v_fmamk_f32 v37, v53, 0x3d64c772, v51
	v_fma_f32 v40, 0x3f3bfb3b, v104, -v106
	v_fma_f32 v52, 0x3f3bfb3b, v105, -v107
	;; [unrolled: 1-line block ×4, first 2 shown]
	v_fmamk_f32 v99, v38, 0x3eae86e6, v108
	v_fmamk_f32 v100, v39, 0x3eae86e6, v109
	v_fma_f32 v104, 0xbeae86e6, v38, -v111
	v_fma_f32 v105, 0xbeae86e6, v39, -v112
	v_fmamk_f32 v38, v48, 0xbf955555, v32
	v_fmamk_f32 v39, v49, 0xbf955555, v33
	v_fma_f32 v65, 0x3f5ff5aa, v102, -v65
	v_fma_f32 v102, 0x3f5ff5aa, v42, -v109
	;; [unrolled: 1-line block ×3, first 2 shown]
	v_fmac_f32_e32 v97, 0x3ee1c552, v41
	v_fmac_f32_e32 v66, 0x3ee1c552, v41
	;; [unrolled: 1-line block ×3, first 2 shown]
	v_fmamk_f32 v41, v58, 0xbf955555, v34
	v_fmamk_f32 v42, v59, 0xbf955555, v35
	v_fmac_f32_e32 v63, 0x3ee1c552, v60
	v_add_f32_e32 v46, v46, v38
	v_add_f32_e32 v47, v47, v39
	v_fmac_f32_e32 v65, 0x3ee1c552, v60
	v_fmac_f32_e32 v67, 0x3ee1c552, v60
	;; [unrolled: 1-line block ×5, first 2 shown]
	v_add_f32_e32 v43, v45, v38
	v_add_f32_e32 v45, v61, v39
	;; [unrolled: 1-line block ×4, first 2 shown]
	v_fmac_f32_e32 v99, 0x3ee1c552, v103
	v_fmac_f32_e32 v101, 0x3ee1c552, v103
	;; [unrolled: 1-line block ×3, first 2 shown]
	v_add_f32_e32 v62, v36, v41
	v_add_f32_e32 v103, v37, v42
	;; [unrolled: 1-line block ×7, first 2 shown]
	v_sub_f32_e32 v37, v47, v63
	v_add_f32_e32 v38, v98, v48
	v_sub_f32_e32 v39, v49, v67
	v_sub_f32_e32 v40, v43, v66
	v_add_f32_e32 v41, v65, v45
	v_add_f32_e32 v42, v66, v43
	v_sub_f32_e32 v43, v45, v65
	v_sub_f32_e32 v44, v48, v98
	v_add_f32_e32 v45, v67, v49
	v_sub_f32_e32 v46, v46, v97
	v_add_f32_e32 v47, v63, v47
	v_add_f32_e32 v48, v100, v62
	v_sub_f32_e32 v49, v103, v99
	v_add_f32_e32 v50, v105, v60
	v_sub_f32_e32 v51, v61, v104
	v_sub_f32_e32 v52, v58, v102
	v_add_f32_e32 v53, v101, v59
	v_add_f32_e32 v58, v102, v58
	v_sub_f32_e32 v59, v59, v101
	v_sub_f32_e32 v60, v60, v105
	v_add_f32_e32 v61, v104, v61
	v_sub_f32_e32 v62, v62, v100
	v_add_f32_e32 v63, v99, v103
	ds_write2_b64 v117, v[32:33], v[36:37] offset1:9
	ds_write2_b64 v117, v[38:39], v[40:41] offset0:18 offset1:27
	ds_write2_b64 v117, v[42:43], v[44:45] offset0:36 offset1:45
	ds_write_b64 v117, v[46:47] offset:432
	ds_write2_b64 v116, v[34:35], v[48:49] offset1:9
	ds_write2_b64 v116, v[50:51], v[52:53] offset0:18 offset1:27
	ds_write2_b64 v116, v[58:59], v[60:61] offset0:36 offset1:45
	ds_write_b64 v116, v[62:63] offset:432
	s_waitcnt lgkmcnt(0)
	s_barrier
	buffer_gl0_inv
	s_clause 0x2
	global_load_dwordx4 v[40:43], v[28:29], off offset:432
	global_load_dwordx4 v[36:39], v[28:29], off offset:448
	;; [unrolled: 1-line block ×3, first 2 shown]
	ds_read2_b64 v[44:47], v113 offset0:126 offset1:189
	ds_read2_b64 v[48:51], v57 offset0:124 offset1:187
	;; [unrolled: 1-line block ×6, first 2 shown]
	ds_read2_b64 v[109:112], v113 offset1:63
	v_mul_i32_i24_e32 v52, 0xffffffd8, v114
	v_mul_hi_i32_i24_e32 v53, 0xffffffd8, v114
	s_waitcnt vmcnt(0) lgkmcnt(0)
	s_barrier
	buffer_gl0_inv
	v_add_co_u32 v67, s0, v28, v52
	v_add_co_ci_u32_e64 v119, s0, v29, v53, s0
	v_add_co_u32 v28, s0, 0x800, v67
	v_add_co_ci_u32_e64 v29, s0, 0, v119, s0
	;; [unrolled: 2-line block ×3, first 2 shown]
	v_mul_f32_e32 v62, v45, v41
	v_mul_f32_e32 v63, v44, v41
	;; [unrolled: 1-line block ×24, first 2 shown]
	v_fma_f32 v44, v44, v40, -v62
	v_fmac_f32_e32 v63, v45, v40
	v_fma_f32 v45, v46, v40, -v128
	v_fmac_f32_e32 v129, v47, v40
	;; [unrolled: 2-line block ×3, first 2 shown]
	v_fma_f32 v47, v58, v36, -v120
	v_fma_f32 v49, v101, v32, -v124
	v_fmac_f32_e32 v125, v102, v32
	v_fma_f32 v58, v105, v34, -v126
	v_fmac_f32_e32 v127, v106, v34
	v_fmac_f32_e32 v121, v59, v36
	v_fma_f32 v48, v97, v38, -v122
	v_fmac_f32_e32 v123, v98, v38
	v_fma_f32 v50, v50, v42, -v130
	;; [unrolled: 2-line block ×6, first 2 shown]
	v_fmac_f32_e32 v135, v100, v38
	v_add_f32_e32 v62, v44, v58
	v_add_f32_e32 v65, v63, v127
	v_sub_f32_e32 v44, v44, v58
	v_sub_f32_e32 v58, v63, v127
	v_add_f32_e32 v63, v46, v49
	v_add_f32_e32 v97, v66, v125
	v_sub_f32_e32 v46, v46, v49
	v_sub_f32_e32 v49, v66, v125
	;; [unrolled: 4-line block ×3, first 2 shown]
	v_add_f32_e32 v99, v45, v61
	v_add_f32_e32 v100, v129, v139
	;; [unrolled: 1-line block ×4, first 2 shown]
	v_sub_f32_e32 v45, v45, v61
	v_sub_f32_e32 v50, v50, v60
	;; [unrolled: 1-line block ×3, first 2 shown]
	v_add_f32_e32 v103, v51, v59
	v_sub_f32_e32 v51, v59, v51
	v_sub_f32_e32 v59, v135, v133
	v_add_f32_e32 v105, v63, v62
	v_add_f32_e32 v106, v97, v65
	v_sub_f32_e32 v61, v129, v139
	v_add_f32_e32 v104, v133, v135
	v_sub_f32_e32 v107, v63, v62
	v_sub_f32_e32 v108, v97, v65
	;; [unrolled: 1-line block ×6, first 2 shown]
	v_add_f32_e32 v120, v47, v46
	v_add_f32_e32 v121, v48, v49
	v_sub_f32_e32 v122, v47, v46
	v_sub_f32_e32 v123, v48, v49
	;; [unrolled: 1-line block ×4, first 2 shown]
	v_add_f32_e32 v124, v101, v99
	v_add_f32_e32 v125, v102, v100
	v_sub_f32_e32 v126, v101, v99
	v_sub_f32_e32 v99, v99, v103
	v_sub_f32_e32 v101, v103, v101
	v_add_f32_e32 v128, v51, v50
	v_add_f32_e32 v129, v59, v60
	v_sub_f32_e32 v130, v51, v50
	v_sub_f32_e32 v131, v59, v60
	v_sub_f32_e32 v50, v50, v45
	;; [unrolled: 5-line block ×3, first 2 shown]
	v_sub_f32_e32 v60, v60, v61
	v_sub_f32_e32 v47, v44, v47
	v_sub_f32_e32 v48, v58, v48
	v_add_f32_e32 v105, v120, v44
	v_add_f32_e32 v58, v121, v58
	v_mul_f32_e32 v62, 0x3f4a47b2, v62
	v_mul_f32_e32 v65, 0x3f4a47b2, v65
	;; [unrolled: 1-line block ×8, first 2 shown]
	v_add_f32_e32 v103, v103, v124
	v_add_f32_e32 v104, v104, v125
	v_sub_f32_e32 v51, v45, v51
	v_sub_f32_e32 v59, v61, v59
	v_add_f32_e32 v124, v128, v45
	v_add_f32_e32 v61, v129, v61
	v_mul_f32_e32 v99, 0x3f4a47b2, v99
	v_mul_f32_e32 v125, 0x3d64c772, v101
	;; [unrolled: 1-line block ×5, first 2 shown]
	v_add_f32_e32 v44, v109, v66
	v_add_f32_e32 v45, v110, v98
	v_mul_f32_e32 v100, 0x3f4a47b2, v100
	v_mul_f32_e32 v128, 0x3d64c772, v102
	;; [unrolled: 1-line block ×3, first 2 shown]
	v_fmamk_f32 v63, v63, 0x3d64c772, v62
	v_fmamk_f32 v97, v97, 0x3d64c772, v65
	v_fma_f32 v106, 0x3f3bfb3b, v107, -v106
	v_fma_f32 v109, 0x3f3bfb3b, v108, -v120
	;; [unrolled: 1-line block ×4, first 2 shown]
	v_fmamk_f32 v107, v47, 0x3eae86e6, v121
	v_fmamk_f32 v108, v48, 0x3eae86e6, v122
	v_fma_f32 v110, 0x3f5ff5aa, v46, -v121
	v_fma_f32 v120, 0x3f5ff5aa, v49, -v122
	;; [unrolled: 1-line block ×4, first 2 shown]
	v_add_f32_e32 v46, v111, v103
	v_add_f32_e32 v47, v112, v104
	v_fmamk_f32 v48, v101, 0x3d64c772, v99
	v_fma_f32 v101, 0x3f3bfb3b, v126, -v125
	v_fma_f32 v99, 0xbf3bfb3b, v126, -v99
	v_fmamk_f32 v111, v51, 0x3eae86e6, v129
	v_fma_f32 v123, 0x3f5ff5aa, v50, -v129
	v_fma_f32 v126, 0xbeae86e6, v51, -v131
	v_fmamk_f32 v50, v66, 0xbf955555, v44
	v_fmamk_f32 v51, v98, 0xbf955555, v45
	;; [unrolled: 1-line block ×3, first 2 shown]
	v_fma_f32 v102, 0x3f3bfb3b, v127, -v128
	v_fma_f32 v100, 0xbf3bfb3b, v127, -v100
	v_fmamk_f32 v112, v59, 0x3eae86e6, v130
	v_fma_f32 v125, 0x3f5ff5aa, v60, -v130
	v_fma_f32 v127, 0xbeae86e6, v59, -v133
	v_fmac_f32_e32 v108, 0x3ee1c552, v58
	v_fmac_f32_e32 v120, 0x3ee1c552, v58
	;; [unrolled: 1-line block ×3, first 2 shown]
	v_fmamk_f32 v58, v103, 0xbf955555, v46
	v_fmamk_f32 v59, v104, 0xbf955555, v47
	v_fmac_f32_e32 v107, 0x3ee1c552, v105
	v_add_f32_e32 v66, v63, v50
	v_add_f32_e32 v97, v97, v51
	v_fmac_f32_e32 v110, 0x3ee1c552, v105
	v_fmac_f32_e32 v121, 0x3ee1c552, v105
	v_fmac_f32_e32 v112, 0x3ee1c552, v61
	v_fmac_f32_e32 v125, 0x3ee1c552, v61
	v_fmac_f32_e32 v127, 0x3ee1c552, v61
	v_add_f32_e32 v60, v106, v50
	v_add_f32_e32 v61, v109, v51
	;; [unrolled: 1-line block ×4, first 2 shown]
	v_fmac_f32_e32 v111, 0x3ee1c552, v124
	v_fmac_f32_e32 v123, 0x3ee1c552, v124
	;; [unrolled: 1-line block ×3, first 2 shown]
	v_add_f32_e32 v109, v48, v58
	v_add_f32_e32 v124, v49, v59
	;; [unrolled: 1-line block ×7, first 2 shown]
	v_sub_f32_e32 v49, v97, v107
	v_add_f32_e32 v50, v122, v62
	v_sub_f32_e32 v51, v63, v121
	v_sub_f32_e32 v58, v60, v120
	v_add_f32_e32 v59, v110, v61
	v_add_f32_e32 v60, v120, v60
	v_sub_f32_e32 v61, v61, v110
	v_sub_f32_e32 v62, v62, v122
	v_add_f32_e32 v63, v121, v63
	v_sub_f32_e32 v65, v66, v108
	v_add_f32_e32 v66, v107, v97
	v_add_f32_e32 v97, v112, v109
	v_sub_f32_e32 v98, v124, v111
	v_add_f32_e32 v99, v127, v105
	v_sub_f32_e32 v100, v106, v126
	v_sub_f32_e32 v101, v103, v125
	v_add_f32_e32 v102, v123, v104
	v_add_f32_e32 v103, v125, v103
	v_sub_f32_e32 v104, v104, v123
	v_sub_f32_e32 v107, v109, v112
	v_add_f32_e32 v108, v111, v124
	v_sub_f32_e32 v105, v105, v127
	v_add_f32_e32 v106, v126, v106
	ds_write2_b64 v113, v[44:45], v[48:49] offset1:63
	ds_write2_b64 v113, v[50:51], v[58:59] offset0:126 offset1:189
	ds_write2_b64 v57, v[60:61], v[62:63] offset0:124 offset1:187
	;; [unrolled: 1-line block ×6, first 2 shown]
	s_waitcnt lgkmcnt(0)
	s_barrier
	buffer_gl0_inv
	s_clause 0x3
	global_load_dwordx2 v[103:104], v[28:29], off offset:1408
	global_load_dwordx2 v[97:98], v[28:29], off offset:1912
	;; [unrolled: 1-line block ×4, first 2 shown]
	v_add_co_u32 v28, s0, 0x1800, v67
	v_add_co_ci_u32_e64 v29, s0, 0, v119, s0
	s_clause 0x2
	global_load_dwordx2 v[105:106], v[52:53], off offset:1376
	global_load_dwordx2 v[101:102], v[52:53], off offset:1880
	;; [unrolled: 1-line block ×3, first 2 shown]
	ds_read2_b64 v[58:61], v56 offset0:122 offset1:185
	ds_read2_b64 v[44:47], v54 offset0:120 offset1:183
	;; [unrolled: 1-line block ×4, first 2 shown]
	ds_read2_b64 v[123:126], v113 offset1:63
	ds_read2_b64 v[127:130], v113 offset0:126 offset1:189
	ds_read2_b64 v[131:134], v57 offset0:124 offset1:187
	v_add_co_u32 v52, s0, 0x1b90, v74
	v_add_co_ci_u32_e64 v53, s0, 0, v75, s0
	s_waitcnt vmcnt(6) lgkmcnt(6)
	v_mul_f32_e32 v28, v61, v104
	v_mul_f32_e32 v29, v60, v104
	s_waitcnt vmcnt(5) lgkmcnt(5)
	v_mul_f32_e32 v62, v45, v98
	v_mul_f32_e32 v63, v44, v98
	s_waitcnt vmcnt(4)
	v_mul_f32_e32 v65, v47, v110
	v_mul_f32_e32 v66, v46, v110
	s_waitcnt vmcnt(3) lgkmcnt(4)
	v_mul_f32_e32 v67, v49, v108
	v_mul_f32_e32 v112, v48, v108
	s_waitcnt vmcnt(2)
	v_mul_f32_e32 v111, v51, v106
	v_mul_f32_e32 v135, v50, v106
	s_waitcnt vmcnt(1) lgkmcnt(3)
	v_mul_f32_e32 v136, v120, v102
	v_mul_f32_e32 v137, v119, v102
	s_waitcnt vmcnt(0)
	v_mul_f32_e32 v138, v122, v100
	v_mul_f32_e32 v139, v121, v100
	v_fma_f32 v44, v44, v97, -v62
	v_fmac_f32_e32 v63, v45, v97
	v_fma_f32 v28, v60, v103, -v28
	v_fmac_f32_e32 v29, v61, v103
	;; [unrolled: 2-line block ×7, first 2 shown]
	s_waitcnt lgkmcnt(2)
	v_sub_f32_e32 v60, v123, v28
	v_sub_f32_e32 v61, v124, v29
	v_sub_f32_e32 v62, v125, v44
	v_sub_f32_e32 v63, v126, v63
	s_waitcnt lgkmcnt(1)
	v_sub_f32_e32 v65, v127, v45
	v_sub_f32_e32 v66, v128, v66
	v_sub_f32_e32 v111, v129, v46
	v_sub_f32_e32 v112, v130, v112
	;; [unrolled: 5-line block ×3, first 2 shown]
	v_sub_f32_e32 v28, v58, v50
	v_sub_f32_e32 v29, v59, v139
	v_fma_f32 v119, v123, 2.0, -v60
	v_fma_f32 v120, v124, 2.0, -v61
	;; [unrolled: 1-line block ×14, first 2 shown]
	ds_write2_b64 v54, v[62:63], v[65:66] offset0:120 offset1:183
	ds_write2_b64 v64, v[111:112], v[44:45] offset0:118 offset1:181
	ds_write2_b64 v55, v[48:49], v[28:29] offset0:116 offset1:179
	ds_write2_b64 v113, v[119:120], v[121:122] offset1:63
	ds_write2_b64 v113, v[123:124], v[125:126] offset0:126 offset1:189
	ds_write2_b64 v57, v[127:128], v[46:47] offset0:124 offset1:187
	ds_write2_b64 v56, v[50:51], v[60:61] offset0:122 offset1:185
	s_waitcnt lgkmcnt(0)
	s_barrier
	buffer_gl0_inv
	s_clause 0x1
	global_load_dwordx2 v[62:63], v[70:71], off offset:912
	global_load_dwordx2 v[65:66], v[52:53], off offset:784
	v_add_co_u32 v58, s0, 0x2000, v74
	v_add_co_ci_u32_e64 v59, s0, 0, v75, s0
	v_add_co_u32 v60, s0, 0x2800, v74
	v_add_co_ci_u32_e64 v61, s0, 0, v75, s0
	s_clause 0x2
	global_load_dwordx2 v[111:112], v[52:53], off offset:1568
	global_load_dwordx2 v[127:128], v[58:59], off offset:1216
	;; [unrolled: 1-line block ×3, first 2 shown]
	v_add_co_u32 v58, s0, 0x3000, v74
	v_add_co_ci_u32_e64 v59, s0, 0, v75, s0
	s_clause 0x3
	global_load_dwordx2 v[131:132], v[60:61], off offset:736
	global_load_dwordx2 v[133:134], v[60:61], off offset:1520
	;; [unrolled: 1-line block ×4, first 2 shown]
	ds_read2_b64 v[58:61], v113 offset1:98
	s_waitcnt vmcnt(8) lgkmcnt(0)
	v_mul_f32_e32 v55, v59, v63
	v_mul_f32_e32 v67, v58, v63
	s_waitcnt vmcnt(7)
	v_mul_f32_e32 v119, v61, v66
	v_mul_f32_e32 v63, v60, v66
	v_fma_f32 v66, v58, v62, -v55
	v_fmac_f32_e32 v67, v59, v62
	v_fma_f32 v62, v60, v65, -v119
	v_fmac_f32_e32 v63, v61, v65
	ds_write2_b64 v113, v[66:67], v[62:63] offset1:98
	ds_read2_b64 v[58:61], v57 offset0:68 offset1:166
	ds_read2_b64 v[119:122], v56 offset0:136 offset1:234
	;; [unrolled: 1-line block ×3, first 2 shown]
	ds_read_b64 v[62:63], v113 offset:6272
	s_waitcnt vmcnt(6) lgkmcnt(3)
	v_mul_f32_e32 v55, v59, v112
	v_mul_f32_e32 v66, v58, v112
	s_waitcnt vmcnt(5)
	v_mul_f32_e32 v67, v61, v128
	v_mul_f32_e32 v112, v60, v128
	s_waitcnt vmcnt(4) lgkmcnt(2)
	v_mul_f32_e32 v139, v120, v130
	v_mul_f32_e32 v128, v119, v130
	s_waitcnt vmcnt(3)
	v_mul_f32_e32 v140, v122, v132
	v_mul_f32_e32 v130, v121, v132
	;; [unrolled: 6-line block ×3, first 2 shown]
	s_waitcnt vmcnt(0) lgkmcnt(0)
	v_mul_f32_e32 v143, v63, v138
	v_mul_f32_e32 v136, v62, v138
	v_fma_f32 v65, v58, v111, -v55
	v_fmac_f32_e32 v66, v59, v111
	v_fma_f32 v111, v60, v127, -v67
	v_fmac_f32_e32 v112, v61, v127
	;; [unrolled: 2-line block ×7, first 2 shown]
	ds_write2_b64 v57, v[65:66], v[111:112] offset0:68 offset1:166
	ds_write2_b64 v56, v[127:128], v[129:130] offset0:136 offset1:234
	;; [unrolled: 1-line block ×3, first 2 shown]
	ds_write_b64 v113, v[135:136] offset:6272
	s_and_saveexec_b32 s1, vcc_lo
	s_cbranch_execz .LBB0_9
; %bb.8:
	s_clause 0x1
	global_load_dwordx2 v[62:63], v[52:53], off offset:504
	global_load_dwordx2 v[65:66], v[52:53], off offset:1288
	v_add_co_u32 v58, s0, 0x800, v52
	v_add_co_ci_u32_e64 v59, s0, 0, v53, s0
	v_add_co_u32 v60, s0, 0x1000, v52
	v_add_co_ci_u32_e64 v61, s0, 0, v53, s0
	;; [unrolled: 2-line block ×3, first 2 shown]
	s_clause 0x6
	global_load_dwordx2 v[111:112], v[58:59], off offset:24
	global_load_dwordx2 v[127:128], v[58:59], off offset:808
	;; [unrolled: 1-line block ×7, first 2 shown]
	ds_read2_b64 v[58:61], v113 offset0:63 offset1:161
	s_waitcnt vmcnt(8) lgkmcnt(0)
	v_mul_f32_e32 v55, v59, v63
	v_mul_f32_e32 v67, v58, v63
	s_waitcnt vmcnt(7)
	v_mul_f32_e32 v119, v61, v66
	v_mul_f32_e32 v63, v60, v66
	v_fma_f32 v66, v58, v62, -v55
	v_fmac_f32_e32 v67, v59, v62
	v_fma_f32 v62, v60, v65, -v119
	v_fmac_f32_e32 v63, v61, v65
	ds_write2_b64 v113, v[66:67], v[62:63] offset0:63 offset1:161
	ds_read2_b64 v[58:61], v56 offset0:3 offset1:101
	ds_read2_b64 v[119:122], v54 offset0:71 offset1:169
	ds_read2_b64 v[123:126], v64 offset0:139 offset1:237
	ds_read_b64 v[62:63], v113 offset:6776
	s_waitcnt vmcnt(6) lgkmcnt(3)
	v_mul_f32_e32 v55, v59, v112
	v_mul_f32_e32 v66, v58, v112
	s_waitcnt vmcnt(5)
	v_mul_f32_e32 v67, v61, v128
	v_mul_f32_e32 v112, v60, v128
	s_waitcnt vmcnt(4) lgkmcnt(2)
	v_mul_f32_e32 v137, v120, v130
	v_mul_f32_e32 v128, v119, v130
	s_waitcnt vmcnt(3)
	v_mul_f32_e32 v138, v122, v132
	v_mul_f32_e32 v130, v121, v132
	;; [unrolled: 6-line block ×3, first 2 shown]
	s_waitcnt vmcnt(0) lgkmcnt(0)
	v_mul_f32_e32 v141, v63, v53
	v_mul_f32_e32 v136, v62, v53
	v_fma_f32 v65, v58, v111, -v55
	v_fmac_f32_e32 v66, v59, v111
	v_fma_f32 v111, v60, v127, -v67
	v_fmac_f32_e32 v112, v61, v127
	;; [unrolled: 2-line block ×7, first 2 shown]
	ds_write2_b64 v56, v[65:66], v[111:112] offset0:3 offset1:101
	ds_write2_b64 v54, v[127:128], v[129:130] offset0:71 offset1:169
	;; [unrolled: 1-line block ×3, first 2 shown]
	ds_write_b64 v113, v[135:136] offset:6776
.LBB0_9:
	s_or_b32 exec_lo, exec_lo, s1
	s_waitcnt lgkmcnt(0)
	s_barrier
	buffer_gl0_inv
	ds_read2_b64 v[52:55], v113 offset1:98
	ds_read2_b64 v[60:63], v57 offset0:68 offset1:166
	ds_read2_b64 v[56:59], v56 offset0:136 offset1:234
	;; [unrolled: 1-line block ×3, first 2 shown]
	ds_read_b64 v[111:112], v113 offset:6272
	s_and_saveexec_b32 s0, vcc_lo
	s_cbranch_execz .LBB0_11
; %bb.10:
	v_add_nc_u32_e32 v24, 0x800, v113
	v_add_nc_u32_e32 v25, 0xc00, v113
	;; [unrolled: 1-line block ×3, first 2 shown]
	ds_read2_b64 v[44:47], v113 offset0:63 offset1:161
	ds_read2_b64 v[48:51], v24 offset0:3 offset1:101
	;; [unrolled: 1-line block ×4, first 2 shown]
	ds_read_b64 v[95:96], v113 offset:6776
.LBB0_11:
	s_or_b32 exec_lo, exec_lo, s0
	s_waitcnt lgkmcnt(0)
	v_sub_f32_e32 v119, v54, v111
	v_add_f32_e32 v111, v54, v111
	v_sub_f32_e32 v120, v55, v112
	v_add_f32_e32 v112, v55, v112
	v_sub_f32_e32 v123, v61, v67
	v_add_f32_e32 v125, v60, v66
	v_fmamk_f32 v54, v111, 0x3f441b7d, v52
	v_mul_f32_e32 v124, 0x3f248dbb, v120
	v_sub_f32_e32 v121, v60, v66
	v_mul_f32_e32 v122, 0x3f248dbb, v119
	v_add_f32_e32 v128, v61, v67
	v_fmamk_f32 v55, v112, 0x3f441b7d, v53
	v_sub_f32_e32 v131, v57, v59
	v_add_f32_e32 v133, v56, v58
	v_sub_f32_e32 v127, v63, v65
	v_fmac_f32_e32 v124, 0x3f7c1c5c, v123
	v_add_f32_e32 v129, v62, v64
	v_sub_f32_e32 v130, v56, v58
	v_fmac_f32_e32 v54, 0x3e31d0d4, v125
	v_sub_f32_e32 v126, v62, v64
	v_fmac_f32_e32 v122, 0x3f7c1c5c, v121
	v_add_f32_e32 v132, v63, v65
	v_fmac_f32_e32 v55, 0x3e31d0d4, v128
	v_add_f32_e32 v134, v57, v59
	v_mul_f32_e32 v64, 0xbf248dbb, v131
	v_fmamk_f32 v61, v133, 0x3f441b7d, v52
	v_fmac_f32_e32 v124, 0x3f5db3d7, v127
	v_fmac_f32_e32 v54, -0.5, v129
	v_mul_f32_e32 v65, 0xbf248dbb, v130
	v_fmac_f32_e32 v122, 0x3f5db3d7, v126
	v_fmac_f32_e32 v55, -0.5, v132
	v_fmamk_f32 v63, v134, 0x3f441b7d, v53
	v_fmac_f32_e32 v64, 0x3f7c1c5c, v120
	v_fmac_f32_e32 v61, 0x3e31d0d4, v111
	;; [unrolled: 1-line block ×9, first 2 shown]
	v_fmac_f32_e32 v61, -0.5, v129
	v_fmac_f32_e32 v65, 0xbf5db3d7, v126
	v_sub_f32_e32 v54, v54, v124
	v_add_f32_e32 v66, v130, v119
	v_mul_f32_e32 v130, 0x3f7c1c5c, v130
	v_fmac_f32_e32 v63, -0.5, v132
	v_fmac_f32_e32 v64, 0x3eaf1d44, v123
	v_fmac_f32_e32 v61, 0xbf708fb2, v125
	v_add_f32_e32 v55, v122, v55
	v_fmac_f32_e32 v65, 0x3eaf1d44, v121
	v_fma_f32 v60, 2.0, v124, v54
	v_sub_f32_e32 v124, v66, v121
	v_fma_f32 v121, 0xbf248dbb, v121, -v130
	v_fmac_f32_e32 v63, 0xbf708fb2, v128
	v_sub_f32_e32 v62, v61, v64
	v_fma_f32 v61, -2.0, v122, v55
	v_add_f32_e32 v67, v131, v120
	v_add_f32_e32 v122, v125, v111
	;; [unrolled: 1-line block ×3, first 2 shown]
	v_mul_f32_e32 v131, 0x3f7c1c5c, v131
	v_fmamk_f32 v125, v125, 0x3f441b7d, v52
	v_fmamk_f32 v128, v128, 0x3f441b7d, v53
	v_fmac_f32_e32 v121, 0x3f5db3d7, v126
	v_sub_f32_e32 v135, v67, v123
	v_fma_f32 v123, 0xbf248dbb, v123, -v131
	v_fmac_f32_e32 v125, 0x3e31d0d4, v133
	v_fmac_f32_e32 v128, 0x3e31d0d4, v134
	v_add_f32_e32 v137, v133, v122
	v_fmac_f32_e32 v121, 0x3eaf1d44, v119
	v_add_f32_e32 v119, v129, v122
	v_add_f32_e32 v122, v132, v136
	v_fmac_f32_e32 v123, 0x3f5db3d7, v127
	v_fmac_f32_e32 v125, -0.5, v129
	v_fmac_f32_e32 v128, -0.5, v132
	v_add_f32_e32 v66, v129, v52
	v_add_f32_e32 v67, v132, v53
	;; [unrolled: 1-line block ×5, first 2 shown]
	v_fmac_f32_e32 v123, 0x3eaf1d44, v120
	v_fmac_f32_e32 v125, 0xbf708fb2, v111
	;; [unrolled: 1-line block ×3, first 2 shown]
	v_fmac_f32_e32 v66, -0.5, v137
	v_fmac_f32_e32 v67, -0.5, v139
	v_add_f32_e32 v111, v58, v119
	v_add_f32_e32 v112, v59, v57
	v_sub_f32_e32 v58, v125, v123
	v_add_f32_e32 v59, v121, v128
	v_add_f32_e32 v63, v65, v63
	v_mul_f32_e32 v138, 0x3f5db3d7, v124
	v_mul_f32_e32 v137, 0x3f5db3d7, v135
	v_fmac_f32_e32 v66, 0xbf5db3d7, v135
	v_fmac_f32_e32 v67, 0x3f5db3d7, v124
	v_add_f32_e32 v52, v111, v52
	v_add_f32_e32 v53, v112, v53
	v_fma_f32 v111, 2.0, v123, v58
	v_fma_f32 v112, -2.0, v121, v59
	v_fma_f32 v64, 2.0, v64, v62
	v_fma_f32 v65, -2.0, v65, v63
	;; [unrolled: 2-line block ×3, first 2 shown]
	s_barrier
	buffer_gl0_inv
	ds_write2_b64 v118, v[52:53], v[54:55] offset1:1
	ds_write2_b64 v118, v[62:63], v[66:67] offset0:2 offset1:3
	ds_write2_b64 v118, v[58:59], v[111:112] offset0:4 offset1:5
	ds_write2_b64 v118, v[56:57], v[64:65] offset0:6 offset1:7
	ds_write_b64 v118, v[60:61] offset:64
	s_and_saveexec_b32 s0, vcc_lo
	s_cbranch_execz .LBB0_13
; %bb.12:
	v_sub_f32_e32 v52, v28, v30
	v_add_f32_e32 v55, v27, v49
	v_sub_f32_e32 v56, v48, v26
	v_add_f32_e32 v58, v31, v29
	v_sub_f32_e32 v61, v29, v31
	v_mul_f32_e32 v57, 0x3f7c1c5c, v52
	v_fmamk_f32 v60, v55, 0x3f441b7d, v45
	v_add_f32_e32 v48, v26, v48
	v_sub_f32_e32 v54, v50, v24
	v_add_f32_e32 v59, v25, v51
	v_fma_f32 v57, 0xbf248dbb, v56, -v57
	v_sub_f32_e32 v49, v49, v27
	v_fmac_f32_e32 v60, 0x3e31d0d4, v58
	v_mul_f32_e32 v27, 0x3f7c1c5c, v61
	v_fmamk_f32 v63, v48, 0x3f441b7d, v44
	v_add_f32_e32 v64, v30, v28
	v_sub_f32_e32 v53, v46, v95
	v_add_f32_e32 v62, v96, v47
	v_fmac_f32_e32 v57, 0x3f5db3d7, v54
	v_sub_f32_e32 v51, v51, v25
	v_fmac_f32_e32 v60, -0.5, v59
	v_fma_f32 v26, 0xbf248dbb, v49, -v27
	v_add_f32_e32 v46, v95, v46
	v_fmac_f32_e32 v63, 0x3e31d0d4, v64
	v_add_f32_e32 v50, v24, v50
	v_fmac_f32_e32 v57, 0x3eaf1d44, v53
	v_fmac_f32_e32 v60, 0xbf708fb2, v62
	v_sub_f32_e32 v65, v47, v96
	v_fmac_f32_e32 v26, 0x3f5db3d7, v51
	v_add_f32_e32 v24, v55, v62
	v_add_f32_e32 v66, v48, v46
	v_fmac_f32_e32 v63, -0.5, v50
	v_add_f32_e32 v25, v57, v60
	v_fmac_f32_e32 v26, 0x3eaf1d44, v65
	v_add_f32_e32 v47, v59, v24
	v_add_f32_e32 v60, v50, v66
	;; [unrolled: 1-line block ×4, first 2 shown]
	v_fmac_f32_e32 v63, 0xbf708fb2, v46
	v_add_f32_e32 v67, v52, v53
	v_add_f32_e32 v29, v29, v47
	;; [unrolled: 1-line block ×3, first 2 shown]
	v_fmac_f32_e32 v27, -0.5, v24
	v_sub_f32_e32 v24, v63, v26
	v_sub_f32_e32 v47, v67, v56
	v_add_f32_e32 v31, v31, v29
	v_add_f32_e32 v30, v30, v28
	v_fma_f32 v29, -2.0, v57, v25
	v_fma_f32 v28, 2.0, v26, v24
	v_add_f32_e32 v57, v61, v65
	v_add_f32_e32 v26, v50, v44
	;; [unrolled: 1-line block ×3, first 2 shown]
	v_mul_f32_e32 v60, 0x3f5db3d7, v47
	v_fmac_f32_e32 v27, 0x3f5db3d7, v47
	v_sub_f32_e32 v57, v57, v49
	v_fmamk_f32 v63, v58, 0x3f441b7d, v45
	v_fmac_f32_e32 v26, -0.5, v66
	v_mul_f32_e32 v67, 0xbf248dbb, v61
	v_fma_f32 v47, -2.0, v60, v27
	v_mul_f32_e32 v60, 0xbf248dbb, v52
	v_mul_f32_e32 v66, 0x3f5db3d7, v57
	v_fmac_f32_e32 v26, 0xbf5db3d7, v57
	v_fmamk_f32 v57, v64, 0x3f441b7d, v44
	v_add_f32_e32 v31, v45, v31
	v_add_f32_e32 v30, v44, v30
	v_fmac_f32_e32 v60, 0x3f7c1c5c, v53
	v_fmac_f32_e32 v63, 0x3e31d0d4, v62
	v_mul_f32_e32 v53, 0x3f248dbb, v53
	v_fmac_f32_e32 v45, 0x3f441b7d, v62
	v_mul_f32_e32 v62, 0x3f248dbb, v65
	v_fmac_f32_e32 v44, 0x3f441b7d, v46
	v_fmac_f32_e32 v67, 0x3f7c1c5c, v65
	;; [unrolled: 1-line block ×8, first 2 shown]
	v_fmac_f32_e32 v63, -0.5, v59
	v_fmac_f32_e32 v67, 0xbf5db3d7, v51
	v_fmac_f32_e32 v57, -0.5, v50
	v_fmac_f32_e32 v53, 0x3f5db3d7, v54
	;; [unrolled: 2-line block ×4, first 2 shown]
	v_fmac_f32_e32 v63, 0xbf708fb2, v55
	v_fmac_f32_e32 v67, 0x3eaf1d44, v49
	;; [unrolled: 1-line block ×7, first 2 shown]
	v_add_f32_e32 v49, v60, v63
	v_sub_f32_e32 v48, v57, v67
	v_add_f32_e32 v45, v53, v45
	v_lshlrev_b32_e32 v54, 3, v115
	v_sub_f32_e32 v44, v44, v62
	v_fma_f32 v46, 2.0, v66, v26
	v_fma_f32 v51, -2.0, v60, v49
	v_fma_f32 v50, 2.0, v67, v48
	v_fma_f32 v53, -2.0, v53, v45
	v_fma_f32 v52, 2.0, v62, v44
	ds_write2_b64 v54, v[30:31], v[44:45] offset1:1
	ds_write2_b64 v54, v[48:49], v[26:27] offset0:2 offset1:3
	ds_write2_b64 v54, v[24:25], v[28:29] offset0:4 offset1:5
	;; [unrolled: 1-line block ×3, first 2 shown]
	ds_write_b64 v54, v[52:53] offset:64
.LBB0_13:
	s_or_b32 exec_lo, exec_lo, s0
	s_waitcnt lgkmcnt(0)
	s_barrier
	buffer_gl0_inv
	ds_read2_b64 v[44:47], v113 offset0:126 offset1:189
	v_add_nc_u32_e32 v27, 0x400, v113
	v_add_nc_u32_e32 v26, 0x800, v113
	;; [unrolled: 1-line block ×5, first 2 shown]
	ds_read2_b64 v[48:51], v27 offset0:124 offset1:187
	ds_read2_b64 v[52:55], v26 offset0:122 offset1:185
	;; [unrolled: 1-line block ×5, first 2 shown]
	ds_read2_b64 v[118:121], v113 offset1:63
	s_waitcnt lgkmcnt(0)
	s_barrier
	buffer_gl0_inv
	s_mov_b32 s4, 0x5bb804a5
	s_mov_b32 s5, 0x3f529372
	s_mul_hi_u32 s1, s8, 0x62
	v_mul_f32_e32 v29, v21, v45
	v_mul_f32_e32 v21, v21, v44
	v_fmac_f32_e32 v29, v20, v44
	v_fma_f32 v20, v20, v45, -v21
	v_mul_f32_e32 v21, v23, v49
	v_mul_f32_e32 v23, v23, v48
	;; [unrolled: 1-line block ×7, first 2 shown]
	v_fmac_f32_e32 v21, v22, v48
	v_fma_f32 v22, v22, v49, -v23
	v_fmac_f32_e32 v30, v16, v52
	v_fma_f32 v16, v16, v53, -v17
	;; [unrolled: 2-line block ×3, first 2 shown]
	v_mul_f32_e32 v13, v13, v60
	v_mul_f32_e32 v18, v15, v65
	;; [unrolled: 1-line block ×7, first 2 shown]
	v_fmac_f32_e32 v44, v12, v60
	v_fma_f32 v12, v12, v61, -v13
	v_fmac_f32_e32 v18, v14, v64
	v_fma_f32 v13, v14, v65, -v15
	;; [unrolled: 2-line block ×3, first 2 shown]
	v_mul_f32_e32 v15, v11, v51
	v_mul_f32_e32 v8, v11, v50
	v_fmac_f32_e32 v23, v4, v54
	v_fma_f32 v47, v4, v55, -v5
	v_mul_f32_e32 v4, v7, v58
	v_mul_f32_e32 v48, v1, v63
	;; [unrolled: 1-line block ×4, first 2 shown]
	v_fmac_f32_e32 v15, v10, v50
	v_fma_f32 v46, v10, v51, -v8
	v_mul_f32_e32 v49, v3, v67
	v_mul_f32_e32 v3, v3, v66
	v_fma_f32 v50, v6, v59, -v4
	v_fmac_f32_e32 v48, v0, v62
	v_fma_f32 v51, v0, v63, -v1
	v_add_f32_e32 v0, v29, v18
	v_add_f32_e32 v1, v20, v13
	;; [unrolled: 1-line block ×4, first 2 shown]
	v_fmac_f32_e32 v45, v6, v58
	v_fmac_f32_e32 v49, v2, v66
	v_fma_f32 v52, v2, v67, -v3
	v_sub_f32_e32 v2, v29, v18
	v_sub_f32_e32 v3, v20, v13
	;; [unrolled: 1-line block ×4, first 2 shown]
	v_add_f32_e32 v8, v30, v31
	v_add_f32_e32 v9, v16, v17
	v_sub_f32_e32 v10, v31, v30
	v_sub_f32_e32 v11, v17, v16
	v_add_f32_e32 v12, v4, v0
	v_add_f32_e32 v13, v5, v1
	v_sub_f32_e32 v16, v4, v0
	v_sub_f32_e32 v17, v5, v1
	;; [unrolled: 1-line block ×6, first 2 shown]
	v_add_f32_e32 v0, v10, v6
	v_add_f32_e32 v1, v11, v7
	v_sub_f32_e32 v21, v10, v6
	v_sub_f32_e32 v22, v11, v7
	v_sub_f32_e32 v6, v6, v2
	v_add_f32_e32 v8, v8, v12
	v_add_f32_e32 v9, v9, v13
	v_sub_f32_e32 v7, v7, v3
	v_sub_f32_e32 v10, v2, v10
	;; [unrolled: 1-line block ×3, first 2 shown]
	v_add_f32_e32 v2, v0, v2
	v_add_f32_e32 v3, v1, v3
	;; [unrolled: 1-line block ×4, first 2 shown]
	v_mul_f32_e32 v12, 0x3f4a47b2, v18
	v_mul_f32_e32 v13, 0x3f4a47b2, v20
	;; [unrolled: 1-line block ×8, first 2 shown]
	v_fmamk_f32 v8, v8, 0xbf955555, v0
	v_fmamk_f32 v9, v9, 0xbf955555, v1
	;; [unrolled: 1-line block ×4, first 2 shown]
	v_fma_f32 v18, 0x3f3bfb3b, v16, -v18
	v_fma_f32 v20, 0x3f3bfb3b, v17, -v20
	;; [unrolled: 1-line block ×4, first 2 shown]
	v_fmamk_f32 v16, v10, 0xbeae86e6, v21
	v_fmamk_f32 v17, v11, 0xbeae86e6, v22
	v_fma_f32 v21, 0xbf5ff5aa, v6, -v21
	v_fma_f32 v22, 0xbf5ff5aa, v7, -v22
	;; [unrolled: 1-line block ×4, first 2 shown]
	v_add_f32_e32 v30, v4, v8
	v_add_f32_e32 v31, v5, v9
	;; [unrolled: 1-line block ×6, first 2 shown]
	v_fmac_f32_e32 v16, 0xbee1c552, v2
	v_fmac_f32_e32 v17, 0xbee1c552, v3
	v_fmac_f32_e32 v21, 0xbee1c552, v2
	v_fmac_f32_e32 v10, 0xbee1c552, v3
	v_fmac_f32_e32 v29, 0xbee1c552, v2
	v_fmac_f32_e32 v22, 0xbee1c552, v3
	v_add_f32_e32 v2, v17, v30
	v_sub_f32_e32 v3, v31, v16
	v_add_f32_e32 v4, v10, v12
	v_sub_f32_e32 v5, v13, v29
	v_sub_f32_e32 v6, v11, v22
	v_add_f32_e32 v7, v21, v18
	v_add_f32_e32 v8, v22, v11
	v_sub_f32_e32 v9, v18, v21
	v_sub_f32_e32 v10, v12, v10
	v_add_f32_e32 v11, v29, v13
	v_sub_f32_e32 v12, v30, v17
	v_add_f32_e32 v13, v16, v31
	v_add_f32_e32 v16, v19, v49
	;; [unrolled: 1-line block ×3, first 2 shown]
	v_sub_f32_e32 v18, v19, v49
	v_add_f32_e32 v19, v15, v48
	v_add_f32_e32 v20, v46, v51
	v_sub_f32_e32 v14, v14, v52
	v_sub_f32_e32 v15, v15, v48
	;; [unrolled: 1-line block ×3, first 2 shown]
	v_add_f32_e32 v22, v23, v45
	v_add_f32_e32 v29, v47, v50
	v_sub_f32_e32 v23, v45, v23
	v_sub_f32_e32 v30, v50, v47
	v_add_f32_e32 v31, v19, v16
	v_add_f32_e32 v44, v20, v17
	v_sub_f32_e32 v45, v19, v16
	v_sub_f32_e32 v46, v20, v17
	;; [unrolled: 1-line block ×6, first 2 shown]
	v_add_f32_e32 v47, v23, v15
	v_add_f32_e32 v48, v30, v21
	v_sub_f32_e32 v49, v23, v15
	v_sub_f32_e32 v50, v30, v21
	;; [unrolled: 1-line block ×3, first 2 shown]
	v_add_f32_e32 v22, v22, v31
	v_add_f32_e32 v29, v29, v44
	v_sub_f32_e32 v21, v21, v14
	v_sub_f32_e32 v23, v18, v23
	;; [unrolled: 1-line block ×3, first 2 shown]
	v_add_f32_e32 v18, v47, v18
	v_add_f32_e32 v31, v48, v14
	;; [unrolled: 1-line block ×4, first 2 shown]
	v_mul_f32_e32 v16, 0x3f4a47b2, v16
	v_mul_f32_e32 v17, 0x3f4a47b2, v17
	;; [unrolled: 1-line block ×8, first 2 shown]
	v_fmamk_f32 v22, v22, 0xbf955555, v14
	v_fmamk_f32 v29, v29, 0xbf955555, v15
	;; [unrolled: 1-line block ×4, first 2 shown]
	v_fma_f32 v44, 0x3f3bfb3b, v45, -v44
	v_fma_f32 v47, 0x3f3bfb3b, v46, -v47
	;; [unrolled: 1-line block ×4, first 2 shown]
	v_fmamk_f32 v45, v23, 0xbeae86e6, v48
	v_fmamk_f32 v46, v30, 0xbeae86e6, v49
	v_fma_f32 v48, 0xbf5ff5aa, v51, -v48
	v_fma_f32 v49, 0xbf5ff5aa, v21, -v49
	;; [unrolled: 1-line block ×4, first 2 shown]
	v_add_f32_e32 v51, v19, v22
	v_add_f32_e32 v52, v20, v29
	;; [unrolled: 1-line block ×6, first 2 shown]
	v_fmac_f32_e32 v45, 0xbee1c552, v18
	v_fmac_f32_e32 v46, 0xbee1c552, v31
	;; [unrolled: 1-line block ×6, first 2 shown]
	v_add_f32_e32 v16, v46, v51
	v_sub_f32_e32 v17, v52, v45
	v_add_f32_e32 v18, v30, v47
	v_sub_f32_e32 v19, v53, v50
	v_sub_f32_e32 v20, v23, v49
	v_add_f32_e32 v21, v48, v44
	v_add_f32_e32 v22, v49, v23
	v_sub_f32_e32 v23, v44, v48
	v_sub_f32_e32 v29, v47, v30
	v_add_f32_e32 v30, v50, v53
	v_sub_f32_e32 v44, v51, v46
	v_add_f32_e32 v45, v45, v52
	ds_write2_b64 v117, v[0:1], v[2:3] offset1:9
	ds_write2_b64 v117, v[4:5], v[6:7] offset0:18 offset1:27
	ds_write2_b64 v117, v[8:9], v[10:11] offset0:36 offset1:45
	ds_write_b64 v117, v[12:13] offset:432
	ds_write2_b64 v116, v[14:15], v[16:17] offset1:9
	ds_write2_b64 v116, v[18:19], v[20:21] offset0:18 offset1:27
	ds_write2_b64 v116, v[22:23], v[29:30] offset0:36 offset1:45
	ds_write_b64 v116, v[44:45] offset:432
	s_waitcnt lgkmcnt(0)
	s_barrier
	buffer_gl0_inv
	ds_read2_b64 v[0:3], v113 offset0:126 offset1:189
	ds_read2_b64 v[4:7], v27 offset0:124 offset1:187
	;; [unrolled: 1-line block ×6, first 2 shown]
	ds_read2_b64 v[44:47], v113 offset1:63
	s_waitcnt lgkmcnt(0)
	s_barrier
	buffer_gl0_inv
	v_mul_f32_e32 v29, v41, v1
	v_mul_f32_e32 v30, v41, v0
	;; [unrolled: 1-line block ×5, first 2 shown]
	v_fmac_f32_e32 v29, v40, v0
	v_fma_f32 v0, v40, v1, -v30
	v_fmac_f32_e32 v31, v42, v4
	v_fma_f32 v1, v42, v5, -v48
	v_mul_f32_e32 v4, v37, v9
	v_mul_f32_e32 v5, v37, v8
	;; [unrolled: 1-line block ×4, first 2 shown]
	v_fmac_f32_e32 v49, v32, v16
	v_fmac_f32_e32 v4, v36, v8
	v_fma_f32 v5, v36, v9, -v5
	v_fma_f32 v8, v38, v13, -v48
	v_mul_f32_e32 v9, v33, v16
	v_mul_f32_e32 v13, v35, v20
	;; [unrolled: 1-line block ×4, first 2 shown]
	v_fmac_f32_e32 v30, v38, v12
	v_mul_f32_e32 v12, v35, v21
	v_fma_f32 v9, v32, v17, -v9
	v_fma_f32 v13, v34, v21, -v13
	v_fmac_f32_e32 v16, v40, v2
	v_fma_f32 v17, v40, v3, -v41
	v_mul_f32_e32 v2, v43, v6
	v_mul_f32_e32 v21, v37, v11
	;; [unrolled: 1-line block ×4, first 2 shown]
	v_fmac_f32_e32 v12, v34, v20
	v_mul_f32_e32 v20, v43, v7
	v_fma_f32 v40, v42, v7, -v2
	v_fmac_f32_e32 v21, v36, v10
	v_fma_f32 v36, v36, v11, -v3
	v_fmac_f32_e32 v37, v38, v14
	v_mul_f32_e32 v2, v39, v14
	v_mul_f32_e32 v14, v33, v19
	;; [unrolled: 1-line block ×3, first 2 shown]
	v_fmac_f32_e32 v20, v42, v6
	v_mul_f32_e32 v6, v35, v22
	v_fma_f32 v15, v38, v15, -v2
	v_fmac_f32_e32 v14, v32, v18
	v_fma_f32 v18, v32, v19, -v3
	v_add_f32_e32 v2, v29, v12
	v_add_f32_e32 v3, v0, v13
	;; [unrolled: 1-line block ×4, first 2 shown]
	v_mul_f32_e32 v33, v35, v23
	v_fma_f32 v19, v34, v23, -v6
	v_sub_f32_e32 v6, v29, v12
	v_sub_f32_e32 v0, v0, v13
	;; [unrolled: 1-line block ×4, first 2 shown]
	v_add_f32_e32 v9, v4, v30
	v_add_f32_e32 v12, v5, v8
	v_sub_f32_e32 v4, v30, v4
	v_sub_f32_e32 v5, v8, v5
	v_add_f32_e32 v8, v7, v2
	v_add_f32_e32 v13, v10, v3
	v_fmac_f32_e32 v33, v34, v22
	v_sub_f32_e32 v22, v7, v2
	v_sub_f32_e32 v23, v10, v3
	;; [unrolled: 1-line block ×6, first 2 shown]
	v_add_f32_e32 v29, v4, v11
	v_add_f32_e32 v30, v5, v1
	v_sub_f32_e32 v31, v4, v11
	v_sub_f32_e32 v32, v5, v1
	v_add_f32_e32 v8, v9, v8
	v_add_f32_e32 v9, v12, v13
	v_sub_f32_e32 v4, v6, v4
	v_sub_f32_e32 v5, v0, v5
	;; [unrolled: 1-line block ×4, first 2 shown]
	v_add_f32_e32 v6, v29, v6
	v_add_f32_e32 v13, v30, v0
	;; [unrolled: 1-line block ×4, first 2 shown]
	v_mul_f32_e32 v2, 0x3f4a47b2, v2
	v_mul_f32_e32 v3, 0x3f4a47b2, v3
	v_mul_f32_e32 v29, 0x3d64c772, v7
	v_mul_f32_e32 v30, 0x3d64c772, v10
	v_mul_f32_e32 v31, 0x3f08b237, v31
	v_mul_f32_e32 v32, 0x3f08b237, v32
	v_mul_f32_e32 v34, 0xbf5ff5aa, v11
	v_mul_f32_e32 v35, 0xbf5ff5aa, v12
	v_fmamk_f32 v8, v8, 0xbf955555, v0
	v_fmamk_f32 v9, v9, 0xbf955555, v1
	;; [unrolled: 1-line block ×4, first 2 shown]
	v_fma_f32 v29, 0x3f3bfb3b, v22, -v29
	v_fma_f32 v30, 0x3f3bfb3b, v23, -v30
	v_fma_f32 v2, 0xbf3bfb3b, v22, -v2
	v_fma_f32 v3, 0xbf3bfb3b, v23, -v3
	v_fmamk_f32 v22, v4, 0xbeae86e6, v31
	v_fmamk_f32 v23, v5, 0xbeae86e6, v32
	v_fma_f32 v11, 0xbf5ff5aa, v11, -v31
	v_fma_f32 v12, 0xbf5ff5aa, v12, -v32
	;; [unrolled: 1-line block ×4, first 2 shown]
	v_add_f32_e32 v34, v7, v8
	v_add_f32_e32 v35, v10, v9
	;; [unrolled: 1-line block ×4, first 2 shown]
	v_fmac_f32_e32 v22, 0xbee1c552, v6
	v_fmac_f32_e32 v23, 0xbee1c552, v13
	;; [unrolled: 1-line block ×4, first 2 shown]
	v_add_f32_e32 v30, v2, v8
	v_add_f32_e32 v38, v3, v9
	v_fmac_f32_e32 v32, 0xbee1c552, v13
	v_fmac_f32_e32 v31, 0xbee1c552, v6
	v_add_f32_e32 v2, v23, v34
	v_sub_f32_e32 v3, v35, v22
	v_sub_f32_e32 v6, v10, v12
	v_add_f32_e32 v7, v11, v29
	v_add_f32_e32 v8, v12, v10
	v_sub_f32_e32 v9, v29, v11
	v_sub_f32_e32 v12, v34, v23
	v_add_f32_e32 v13, v22, v35
	v_add_f32_e32 v22, v16, v33
	;; [unrolled: 1-line block ×3, first 2 shown]
	v_sub_f32_e32 v17, v17, v19
	v_add_f32_e32 v19, v20, v14
	v_add_f32_e32 v29, v40, v18
	v_add_f32_e32 v4, v32, v30
	v_sub_f32_e32 v5, v38, v31
	v_sub_f32_e32 v10, v30, v32
	v_add_f32_e32 v11, v31, v38
	v_sub_f32_e32 v16, v16, v33
	v_sub_f32_e32 v14, v20, v14
	;; [unrolled: 1-line block ×3, first 2 shown]
	v_add_f32_e32 v20, v21, v37
	v_add_f32_e32 v30, v36, v15
	v_sub_f32_e32 v21, v37, v21
	v_sub_f32_e32 v15, v15, v36
	v_add_f32_e32 v31, v19, v22
	v_add_f32_e32 v32, v29, v23
	v_sub_f32_e32 v33, v19, v22
	v_sub_f32_e32 v34, v29, v23
	;; [unrolled: 1-line block ×6, first 2 shown]
	v_add_f32_e32 v35, v21, v14
	v_add_f32_e32 v36, v15, v18
	v_sub_f32_e32 v37, v21, v14
	v_sub_f32_e32 v38, v15, v18
	;; [unrolled: 1-line block ×3, first 2 shown]
	v_add_f32_e32 v20, v20, v31
	v_add_f32_e32 v30, v30, v32
	v_sub_f32_e32 v18, v18, v17
	v_sub_f32_e32 v21, v16, v21
	;; [unrolled: 1-line block ×3, first 2 shown]
	v_add_f32_e32 v16, v35, v16
	v_add_f32_e32 v17, v36, v17
	v_add_f32_e32 v14, v46, v20
	v_add_f32_e32 v15, v47, v30
	v_mul_f32_e32 v22, 0x3f4a47b2, v22
	v_mul_f32_e32 v23, 0x3f4a47b2, v23
	;; [unrolled: 1-line block ×8, first 2 shown]
	v_fmamk_f32 v20, v20, 0xbf955555, v14
	v_fmamk_f32 v30, v30, 0xbf955555, v15
	;; [unrolled: 1-line block ×4, first 2 shown]
	v_fma_f32 v31, 0x3f3bfb3b, v33, -v31
	v_fma_f32 v32, 0x3f3bfb3b, v34, -v32
	;; [unrolled: 1-line block ×4, first 2 shown]
	v_fmamk_f32 v33, v21, 0xbeae86e6, v35
	v_fmamk_f32 v34, v39, 0xbeae86e6, v36
	v_fma_f32 v37, 0x3eae86e6, v21, -v37
	v_fma_f32 v38, 0x3eae86e6, v39, -v38
	v_fma_f32 v35, 0xbf5ff5aa, v40, -v35
	v_fma_f32 v36, 0xbf5ff5aa, v18, -v36
	v_add_f32_e32 v39, v19, v20
	v_add_f32_e32 v40, v29, v30
	;; [unrolled: 1-line block ×6, first 2 shown]
	v_fmac_f32_e32 v33, 0xbee1c552, v16
	v_fmac_f32_e32 v34, 0xbee1c552, v17
	;; [unrolled: 1-line block ×6, first 2 shown]
	v_add_f32_e32 v16, v34, v39
	v_sub_f32_e32 v17, v40, v33
	v_add_f32_e32 v18, v38, v32
	v_sub_f32_e32 v19, v30, v37
	v_sub_f32_e32 v20, v29, v36
	v_add_f32_e32 v21, v35, v31
	v_add_f32_e32 v22, v36, v29
	v_sub_f32_e32 v23, v31, v35
	v_sub_f32_e32 v29, v32, v38
	v_add_f32_e32 v30, v37, v30
	v_sub_f32_e32 v31, v39, v34
	v_add_f32_e32 v32, v33, v40
	ds_write2_b64 v113, v[0:1], v[2:3] offset1:63
	ds_write2_b64 v113, v[4:5], v[6:7] offset0:126 offset1:189
	ds_write2_b64 v27, v[8:9], v[10:11] offset0:124 offset1:187
	;; [unrolled: 1-line block ×6, first 2 shown]
	s_waitcnt lgkmcnt(0)
	s_barrier
	buffer_gl0_inv
	ds_read2_b64 v[0:3], v26 offset0:122 offset1:185
	ds_read2_b64 v[4:7], v25 offset0:120 offset1:183
	;; [unrolled: 1-line block ×3, first 2 shown]
	ds_read2_b64 v[12:15], v113 offset1:63
	ds_read2_b64 v[16:19], v28 offset0:116 offset1:179
	ds_read2_b64 v[20:23], v113 offset0:126 offset1:189
	ds_read2_b64 v[29:32], v27 offset0:124 offset1:187
	s_waitcnt lgkmcnt(6)
	v_mul_f32_e32 v33, v104, v3
	v_mul_f32_e32 v34, v104, v2
	s_waitcnt lgkmcnt(5)
	v_mul_f32_e32 v35, v98, v5
	s_waitcnt lgkmcnt(4)
	v_mul_f32_e32 v36, v108, v9
	v_mul_f32_e32 v38, v106, v11
	v_fmac_f32_e32 v33, v103, v2
	v_mul_f32_e32 v2, v98, v4
	v_fma_f32 v3, v103, v3, -v34
	v_fmac_f32_e32 v35, v97, v4
	v_mul_f32_e32 v34, v110, v7
	v_mul_f32_e32 v4, v110, v6
	v_fma_f32 v5, v97, v5, -v2
	v_mul_f32_e32 v2, v108, v8
	v_fmac_f32_e32 v36, v107, v8
	v_fmac_f32_e32 v34, v109, v6
	v_fma_f32 v37, v109, v7, -v4
	s_waitcnt lgkmcnt(2)
	v_mul_f32_e32 v40, v102, v17
	v_fma_f32 v39, v107, v9, -v2
	v_mul_f32_e32 v2, v106, v10
	v_mul_f32_e32 v4, v102, v16
	;; [unrolled: 1-line block ×4, first 2 shown]
	v_sub_f32_e32 v3, v13, v3
	v_fma_f32 v42, v105, v11, -v2
	v_sub_f32_e32 v2, v12, v33
	v_fmac_f32_e32 v38, v105, v10
	v_fmac_f32_e32 v40, v101, v16
	v_fma_f32 v43, v101, v17, -v4
	v_fmac_f32_e32 v41, v99, v18
	v_sub_f32_e32 v4, v14, v35
	v_fma_f32 v35, v99, v19, -v6
	v_fma_f32 v6, v12, 2.0, -v2
	v_fma_f32 v7, v13, 2.0, -v3
	s_waitcnt lgkmcnt(1)
	v_sub_f32_e32 v12, v22, v36
	v_sub_f32_e32 v13, v23, v39
	;; [unrolled: 1-line block ×5, first 2 shown]
	s_waitcnt lgkmcnt(0)
	v_sub_f32_e32 v16, v29, v38
	v_fma_f32 v18, v22, 2.0, -v12
	v_fma_f32 v19, v23, 2.0, -v13
	v_sub_f32_e32 v17, v30, v42
	v_sub_f32_e32 v22, v31, v40
	;; [unrolled: 1-line block ×5, first 2 shown]
	v_fma_f32 v8, v14, 2.0, -v4
	v_fma_f32 v9, v15, 2.0, -v5
	;; [unrolled: 1-line block ×10, first 2 shown]
	ds_write2_b64 v113, v[6:7], v[8:9] offset1:63
	ds_write2_b64 v25, v[4:5], v[10:11] offset0:120 offset1:183
	ds_write2_b64 v113, v[14:15], v[18:19] offset0:126 offset1:189
	ds_write2_b64 v24, v[12:13], v[16:17] offset0:118 offset1:181
	ds_write2_b64 v27, v[20:21], v[29:30] offset0:124 offset1:187
	ds_write2_b64 v26, v[0:1], v[2:3] offset0:122 offset1:185
	ds_write2_b64 v28, v[22:23], v[33:34] offset0:116 offset1:179
	s_waitcnt lgkmcnt(0)
	s_barrier
	buffer_gl0_inv
	ds_read2_b64 v[0:3], v113 offset1:98
	v_mad_u64_u32 v[8:9], null, s10, v76, 0
	v_mad_u64_u32 v[12:13], null, s8, v114, 0
	s_waitcnt lgkmcnt(0)
	v_mul_f32_e32 v4, v94, v1
	v_mul_f32_e32 v5, v94, v0
	;; [unrolled: 1-line block ×3, first 2 shown]
	v_fmac_f32_e32 v4, v93, v0
	v_fma_f32 v5, v93, v1, -v5
	v_fmac_f32_e32 v14, v87, v2
	v_cvt_f64_f32_e32 v[0:1], v4
	v_cvt_f64_f32_e32 v[4:5], v5
	;; [unrolled: 1-line block ×3, first 2 shown]
	v_mul_f64 v[0:1], v[0:1], s[4:5]
	v_mul_f64 v[10:11], v[4:5], s[4:5]
	ds_read2_b64 v[4:7], v27 offset0:68 offset1:166
	v_mad_u64_u32 v[16:17], null, s11, v76, v[9:10]
	v_mad_u64_u32 v[17:18], null, s9, v114, v[13:14]
	v_cvt_f32_f64_e32 v18, v[0:1]
	v_mul_f32_e32 v0, v88, v2
	v_cvt_f32_f64_e32 v19, v[10:11]
	s_waitcnt lgkmcnt(0)
	v_mul_f32_e32 v2, v90, v5
	v_mov_b32_e32 v9, v16
	v_mul_f32_e32 v10, v90, v4
	v_mov_b32_e32 v13, v17
	v_fma_f32 v3, v87, v3, -v0
	v_mul_f64 v[14:15], v[14:15], s[4:5]
	v_lshlrev_b64 v[0:1], 3, v[8:9]
	v_fmac_f32_e32 v2, v89, v4
	v_fma_f32 v10, v89, v5, -v10
	v_lshlrev_b64 v[8:9], 3, v[12:13]
	v_cvt_f64_f32_e32 v[4:5], v3
	v_cvt_f64_f32_e32 v[12:13], v2
	;; [unrolled: 1-line block ×3, first 2 shown]
	v_add_co_u32 v10, s0, s2, v0
	v_add_co_ci_u32_e64 v11, s0, s3, v1, s0
	ds_read2_b64 v[0:3], v26 offset0:136 offset1:234
	v_add_co_u32 v20, s0, v10, v8
	v_add_co_ci_u32_e64 v21, s0, v11, v9, s0
	ds_read2_b64 v[8:11], v24 offset0:76 offset1:174
	s_mul_i32 s0, s9, 0x62
	global_store_dwordx2 v[20:21], v[18:19], off
	v_mul_f32_e32 v18, v92, v7
	v_cvt_f32_f64_e32 v14, v[14:15]
	v_mul_f32_e32 v15, v92, v6
	s_add_i32 s1, s1, s0
	s_mul_i32 s0, s8, 0x62
	v_fmac_f32_e32 v18, v91, v6
	v_mul_f64 v[4:5], v[4:5], s[4:5]
	v_fma_f32 v15, v91, v7, -v15
	v_mul_f64 v[6:7], v[12:13], s[4:5]
	v_mul_f64 v[12:13], v[16:17], s[4:5]
	v_cvt_f64_f32_e32 v[16:17], v18
	ds_read_b64 v[18:19], v113 offset:6272
	v_cvt_f64_f32_e32 v[22:23], v15
	s_waitcnt lgkmcnt(2)
	v_mul_f32_e32 v15, v82, v1
	v_mul_f32_e32 v27, v82, v0
	;; [unrolled: 1-line block ×3, first 2 shown]
	s_waitcnt lgkmcnt(1)
	v_mul_f32_e32 v31, v78, v9
	v_mul_f32_e32 v29, v80, v2
	v_fmac_f32_e32 v15, v81, v0
	v_fma_f32 v27, v81, v1, -v27
	v_mul_f32_e32 v33, v84, v10
	v_fmac_f32_e32 v31, v77, v8
	v_mul_f32_e32 v8, v78, v8
	v_cvt_f64_f32_e32 v[0:1], v15
	v_mul_f32_e32 v15, v84, v11
	v_fmac_f32_e32 v28, v79, v2
	v_fma_f32 v29, v79, v3, -v29
	v_cvt_f64_f32_e32 v[2:3], v27
	v_fma_f32 v8, v77, v9, -v8
	v_fma_f32 v33, v83, v11, -v33
	v_fmac_f32_e32 v15, v83, v10
	s_waitcnt lgkmcnt(0)
	v_mul_f32_e32 v34, v86, v19
	v_mul_f32_e32 v35, v86, v18
	v_cvt_f64_f32_e32 v[27:28], v28
	v_cvt_f64_f32_e32 v[29:30], v29
	;; [unrolled: 1-line block ×3, first 2 shown]
	v_fmac_f32_e32 v34, v85, v18
	v_fma_f32 v35, v85, v19, -v35
	v_cvt_f64_f32_e32 v[18:19], v33
	v_cvt_f64_f32_e32 v[31:32], v31
	v_cvt_f64_f32_e32 v[10:11], v15
	v_cvt_f64_f32_e32 v[33:34], v34
	v_cvt_f64_f32_e32 v[35:36], v35
	v_cvt_f32_f64_e32 v15, v[4:5]
	v_mul_f64 v[4:5], v[16:17], s[4:5]
	v_mul_f64 v[16:17], v[22:23], s[4:5]
	s_lshl_b64 s[2:3], s[0:1], 3
	v_mul_f64 v[0:1], v[0:1], s[4:5]
	v_cvt_f32_f64_e32 v6, v[6:7]
	v_mul_f64 v[2:3], v[2:3], s[4:5]
	v_cvt_f32_f64_e32 v7, v[12:13]
	v_add_co_u32 v20, s0, v20, s2
	v_add_co_ci_u32_e64 v21, s0, s3, v21, s0
	v_mul_f64 v[12:13], v[27:28], s[4:5]
	v_mul_f64 v[22:23], v[29:30], s[4:5]
	;; [unrolled: 1-line block ×8, first 2 shown]
	v_add_co_u32 v33, s0, v20, s2
	v_add_co_ci_u32_e64 v34, s0, s3, v21, s0
	v_cvt_f32_f64_e32 v4, v[4:5]
	v_cvt_f32_f64_e32 v5, v[16:17]
	v_add_co_u32 v16, s0, v33, s2
	v_add_co_ci_u32_e64 v17, s0, s3, v34, s0
	v_cvt_f32_f64_e32 v36, v[2:3]
	v_add_co_u32 v2, s0, v16, s2
	v_add_co_ci_u32_e64 v3, s0, s3, v17, s0
	v_cvt_f32_f64_e32 v35, v[0:1]
	v_cvt_f32_f64_e32 v12, v[12:13]
	;; [unrolled: 1-line block ×5, first 2 shown]
	v_add_co_u32 v18, s0, v2, s2
	v_cvt_f32_f64_e32 v22, v[27:28]
	v_add_co_ci_u32_e64 v19, s0, s3, v3, s0
	v_cvt_f32_f64_e32 v8, v[10:11]
	v_cvt_f32_f64_e32 v10, v[29:30]
	;; [unrolled: 1-line block ×3, first 2 shown]
	global_store_dwordx2 v[20:21], v[14:15], off
	v_add_co_u32 v14, s0, v18, s2
	v_add_co_ci_u32_e64 v15, s0, s3, v19, s0
	global_store_dwordx2 v[33:34], v[6:7], off
	v_add_co_u32 v6, s0, v14, s2
	v_add_co_ci_u32_e64 v7, s0, s3, v15, s0
	;; [unrolled: 3-line block ×3, first 2 shown]
	global_store_dwordx2 v[2:3], v[35:36], off
	global_store_dwordx2 v[18:19], v[12:13], off
	global_store_dwordx2 v[14:15], v[22:23], off
	global_store_dwordx2 v[6:7], v[8:9], off
	global_store_dwordx2 v[0:1], v[10:11], off
	s_and_b32 exec_lo, exec_lo, vcc_lo
	s_cbranch_execz .LBB0_15
; %bb.14:
	s_clause 0x2
	global_load_dwordx2 v[10:11], v[74:75], off offset:504
	global_load_dwordx2 v[12:13], v[74:75], off offset:1288
	;; [unrolled: 1-line block ×3, first 2 shown]
	ds_read2_b64 v[2:5], v113 offset0:63 offset1:161
	ds_read2_b64 v[6:9], v26 offset0:3 offset1:101
	v_mad_u64_u32 v[0:1], null, 0xffffe978, s8, v[0:1]
	s_mul_i32 s0, s9, 0xffffe978
	s_sub_i32 s0, s0, s8
	v_add_nc_u32_e32 v1, s0, v1
	s_waitcnt vmcnt(2) lgkmcnt(1)
	v_mul_f32_e32 v16, v3, v11
	v_mul_f32_e32 v11, v2, v11
	s_waitcnt vmcnt(1)
	v_mul_f32_e32 v17, v5, v13
	v_mul_f32_e32 v13, v4, v13
	s_waitcnt vmcnt(0) lgkmcnt(0)
	v_mul_f32_e32 v18, v7, v15
	v_mul_f32_e32 v15, v6, v15
	v_fmac_f32_e32 v16, v2, v10
	v_fma_f32 v10, v10, v3, -v11
	v_fmac_f32_e32 v17, v4, v12
	v_fma_f32 v11, v12, v5, -v13
	;; [unrolled: 2-line block ×3, first 2 shown]
	v_cvt_f64_f32_e32 v[2:3], v16
	v_cvt_f64_f32_e32 v[4:5], v10
	;; [unrolled: 1-line block ×6, first 2 shown]
	v_mul_f64 v[2:3], v[2:3], s[4:5]
	v_mul_f64 v[4:5], v[4:5], s[4:5]
	;; [unrolled: 1-line block ×6, first 2 shown]
	v_cvt_f32_f64_e32 v2, v[2:3]
	v_cvt_f32_f64_e32 v3, v[4:5]
	;; [unrolled: 1-line block ×6, first 2 shown]
	v_add_co_u32 v10, vcc_lo, v0, s2
	v_add_co_ci_u32_e32 v11, vcc_lo, s3, v1, vcc_lo
	v_add_co_u32 v12, vcc_lo, v10, s2
	v_add_co_ci_u32_e32 v13, vcc_lo, s3, v11, vcc_lo
	global_store_dwordx2 v[0:1], v[2:3], off
	global_store_dwordx2 v[10:11], v[4:5], off
	;; [unrolled: 1-line block ×3, first 2 shown]
	global_load_dwordx2 v[0:1], v[72:73], off offset:808
	v_add_co_u32 v4, vcc_lo, v12, s2
	v_add_co_ci_u32_e32 v5, vcc_lo, s3, v13, vcc_lo
	s_waitcnt vmcnt(0)
	v_mul_f32_e32 v2, v9, v1
	v_mul_f32_e32 v1, v8, v1
	v_fmac_f32_e32 v2, v8, v0
	v_fma_f32 v3, v0, v9, -v1
	v_cvt_f64_f32_e32 v[0:1], v2
	v_cvt_f64_f32_e32 v[2:3], v3
	v_mul_f64 v[0:1], v[0:1], s[4:5]
	v_mul_f64 v[2:3], v[2:3], s[4:5]
	v_cvt_f32_f64_e32 v0, v[0:1]
	v_cvt_f32_f64_e32 v1, v[2:3]
	global_store_dwordx2 v[4:5], v[0:1], off
	global_load_dwordx2 v[6:7], v[72:73], off offset:1592
	ds_read2_b64 v[0:3], v25 offset0:71 offset1:169
	v_add_co_u32 v4, vcc_lo, v4, s2
	v_add_co_ci_u32_e32 v5, vcc_lo, s3, v5, vcc_lo
	s_waitcnt vmcnt(0) lgkmcnt(0)
	v_mul_f32_e32 v8, v1, v7
	v_mul_f32_e32 v7, v0, v7
	v_fmac_f32_e32 v8, v0, v6
	v_fma_f32 v6, v6, v1, -v7
	v_cvt_f64_f32_e32 v[0:1], v8
	v_cvt_f64_f32_e32 v[6:7], v6
	v_mul_f64 v[0:1], v[0:1], s[4:5]
	v_mul_f64 v[6:7], v[6:7], s[4:5]
	v_cvt_f32_f64_e32 v0, v[0:1]
	v_cvt_f32_f64_e32 v1, v[6:7]
	global_store_dwordx2 v[4:5], v[0:1], off
	global_load_dwordx2 v[0:1], v[68:69], off offset:328
	v_add_co_u32 v4, vcc_lo, v4, s2
	v_add_co_ci_u32_e32 v5, vcc_lo, s3, v5, vcc_lo
	s_waitcnt vmcnt(0)
	v_mul_f32_e32 v6, v3, v1
	v_mul_f32_e32 v1, v2, v1
	v_fmac_f32_e32 v6, v2, v0
	v_fma_f32 v2, v0, v3, -v1
	v_cvt_f64_f32_e32 v[0:1], v6
	v_cvt_f64_f32_e32 v[2:3], v2
	v_mul_f64 v[0:1], v[0:1], s[4:5]
	v_mul_f64 v[2:3], v[2:3], s[4:5]
	v_cvt_f32_f64_e32 v0, v[0:1]
	v_cvt_f32_f64_e32 v1, v[2:3]
	global_store_dwordx2 v[4:5], v[0:1], off
	global_load_dwordx2 v[6:7], v[68:69], off offset:1112
	ds_read2_b64 v[0:3], v24 offset0:139 offset1:237
	v_add_co_u32 v4, vcc_lo, v4, s2
	v_add_co_ci_u32_e32 v5, vcc_lo, s3, v5, vcc_lo
	s_waitcnt vmcnt(0) lgkmcnt(0)
	v_mul_f32_e32 v8, v1, v7
	v_mul_f32_e32 v7, v0, v7
	v_fmac_f32_e32 v8, v0, v6
	v_fma_f32 v6, v6, v1, -v7
	v_cvt_f64_f32_e32 v[0:1], v8
	v_cvt_f64_f32_e32 v[6:7], v6
	v_mul_f64 v[0:1], v[0:1], s[4:5]
	v_mul_f64 v[6:7], v[6:7], s[4:5]
	v_cvt_f32_f64_e32 v0, v[0:1]
	v_cvt_f32_f64_e32 v1, v[6:7]
	global_store_dwordx2 v[4:5], v[0:1], off
	global_load_dwordx2 v[0:1], v[68:69], off offset:1896
	s_waitcnt vmcnt(0)
	v_mul_f32_e32 v6, v3, v1
	v_mul_f32_e32 v1, v2, v1
	v_fmac_f32_e32 v6, v2, v0
	v_fma_f32 v2, v0, v3, -v1
	v_cvt_f64_f32_e32 v[0:1], v6
	v_cvt_f64_f32_e32 v[2:3], v2
	v_mul_f64 v[0:1], v[0:1], s[4:5]
	v_mul_f64 v[2:3], v[2:3], s[4:5]
	v_cvt_f32_f64_e32 v0, v[0:1]
	v_cvt_f32_f64_e32 v1, v[2:3]
	v_add_co_u32 v2, vcc_lo, v4, s2
	v_add_co_ci_u32_e32 v3, vcc_lo, s3, v5, vcc_lo
	ds_read_b64 v[4:5], v113 offset:6776
	global_store_dwordx2 v[2:3], v[0:1], off
	global_load_dwordx2 v[0:1], v[70:71], off offset:632
	v_add_co_u32 v2, vcc_lo, v2, s2
	v_add_co_ci_u32_e32 v3, vcc_lo, s3, v3, vcc_lo
	s_waitcnt vmcnt(0) lgkmcnt(0)
	v_mul_f32_e32 v6, v5, v1
	v_mul_f32_e32 v1, v4, v1
	v_fmac_f32_e32 v6, v4, v0
	v_fma_f32 v4, v0, v5, -v1
	v_cvt_f64_f32_e32 v[0:1], v6
	v_cvt_f64_f32_e32 v[4:5], v4
	v_mul_f64 v[0:1], v[0:1], s[4:5]
	v_mul_f64 v[4:5], v[4:5], s[4:5]
	v_cvt_f32_f64_e32 v0, v[0:1]
	v_cvt_f32_f64_e32 v1, v[4:5]
	global_store_dwordx2 v[2:3], v[0:1], off
.LBB0_15:
	s_endpgm
	.section	.rodata,"a",@progbits
	.p2align	6, 0x0
	.amdhsa_kernel bluestein_single_back_len882_dim1_sp_op_CI_CI
		.amdhsa_group_segment_fixed_size 7056
		.amdhsa_private_segment_fixed_size 0
		.amdhsa_kernarg_size 104
		.amdhsa_user_sgpr_count 6
		.amdhsa_user_sgpr_private_segment_buffer 1
		.amdhsa_user_sgpr_dispatch_ptr 0
		.amdhsa_user_sgpr_queue_ptr 0
		.amdhsa_user_sgpr_kernarg_segment_ptr 1
		.amdhsa_user_sgpr_dispatch_id 0
		.amdhsa_user_sgpr_flat_scratch_init 0
		.amdhsa_user_sgpr_private_segment_size 0
		.amdhsa_wavefront_size32 1
		.amdhsa_uses_dynamic_stack 0
		.amdhsa_system_sgpr_private_segment_wavefront_offset 0
		.amdhsa_system_sgpr_workgroup_id_x 1
		.amdhsa_system_sgpr_workgroup_id_y 0
		.amdhsa_system_sgpr_workgroup_id_z 0
		.amdhsa_system_sgpr_workgroup_info 0
		.amdhsa_system_vgpr_workitem_id 0
		.amdhsa_next_free_vgpr 144
		.amdhsa_next_free_sgpr 16
		.amdhsa_reserve_vcc 1
		.amdhsa_reserve_flat_scratch 0
		.amdhsa_float_round_mode_32 0
		.amdhsa_float_round_mode_16_64 0
		.amdhsa_float_denorm_mode_32 3
		.amdhsa_float_denorm_mode_16_64 3
		.amdhsa_dx10_clamp 1
		.amdhsa_ieee_mode 1
		.amdhsa_fp16_overflow 0
		.amdhsa_workgroup_processor_mode 1
		.amdhsa_memory_ordered 1
		.amdhsa_forward_progress 0
		.amdhsa_shared_vgpr_count 0
		.amdhsa_exception_fp_ieee_invalid_op 0
		.amdhsa_exception_fp_denorm_src 0
		.amdhsa_exception_fp_ieee_div_zero 0
		.amdhsa_exception_fp_ieee_overflow 0
		.amdhsa_exception_fp_ieee_underflow 0
		.amdhsa_exception_fp_ieee_inexact 0
		.amdhsa_exception_int_div_zero 0
	.end_amdhsa_kernel
	.text
.Lfunc_end0:
	.size	bluestein_single_back_len882_dim1_sp_op_CI_CI, .Lfunc_end0-bluestein_single_back_len882_dim1_sp_op_CI_CI
                                        ; -- End function
	.section	.AMDGPU.csdata,"",@progbits
; Kernel info:
; codeLenInByte = 13836
; NumSgprs: 18
; NumVgprs: 144
; ScratchSize: 0
; MemoryBound: 0
; FloatMode: 240
; IeeeMode: 1
; LDSByteSize: 7056 bytes/workgroup (compile time only)
; SGPRBlocks: 2
; VGPRBlocks: 17
; NumSGPRsForWavesPerEU: 18
; NumVGPRsForWavesPerEU: 144
; Occupancy: 7
; WaveLimiterHint : 1
; COMPUTE_PGM_RSRC2:SCRATCH_EN: 0
; COMPUTE_PGM_RSRC2:USER_SGPR: 6
; COMPUTE_PGM_RSRC2:TRAP_HANDLER: 0
; COMPUTE_PGM_RSRC2:TGID_X_EN: 1
; COMPUTE_PGM_RSRC2:TGID_Y_EN: 0
; COMPUTE_PGM_RSRC2:TGID_Z_EN: 0
; COMPUTE_PGM_RSRC2:TIDIG_COMP_CNT: 0
	.text
	.p2alignl 6, 3214868480
	.fill 48, 4, 3214868480
	.type	__hip_cuid_c1ad9f2067c32f30,@object ; @__hip_cuid_c1ad9f2067c32f30
	.section	.bss,"aw",@nobits
	.globl	__hip_cuid_c1ad9f2067c32f30
__hip_cuid_c1ad9f2067c32f30:
	.byte	0                               ; 0x0
	.size	__hip_cuid_c1ad9f2067c32f30, 1

	.ident	"AMD clang version 19.0.0git (https://github.com/RadeonOpenCompute/llvm-project roc-6.4.0 25133 c7fe45cf4b819c5991fe208aaa96edf142730f1d)"
	.section	".note.GNU-stack","",@progbits
	.addrsig
	.addrsig_sym __hip_cuid_c1ad9f2067c32f30
	.amdgpu_metadata
---
amdhsa.kernels:
  - .args:
      - .actual_access:  read_only
        .address_space:  global
        .offset:         0
        .size:           8
        .value_kind:     global_buffer
      - .actual_access:  read_only
        .address_space:  global
        .offset:         8
        .size:           8
        .value_kind:     global_buffer
      - .actual_access:  read_only
        .address_space:  global
        .offset:         16
        .size:           8
        .value_kind:     global_buffer
      - .actual_access:  read_only
        .address_space:  global
        .offset:         24
        .size:           8
        .value_kind:     global_buffer
      - .actual_access:  read_only
        .address_space:  global
        .offset:         32
        .size:           8
        .value_kind:     global_buffer
      - .offset:         40
        .size:           8
        .value_kind:     by_value
      - .address_space:  global
        .offset:         48
        .size:           8
        .value_kind:     global_buffer
      - .address_space:  global
        .offset:         56
        .size:           8
        .value_kind:     global_buffer
      - .address_space:  global
        .offset:         64
        .size:           8
        .value_kind:     global_buffer
      - .address_space:  global
        .offset:         72
        .size:           8
        .value_kind:     global_buffer
      - .offset:         80
        .size:           4
        .value_kind:     by_value
      - .address_space:  global
        .offset:         88
        .size:           8
        .value_kind:     global_buffer
      - .address_space:  global
        .offset:         96
        .size:           8
        .value_kind:     global_buffer
    .group_segment_fixed_size: 7056
    .kernarg_segment_align: 8
    .kernarg_segment_size: 104
    .language:       OpenCL C
    .language_version:
      - 2
      - 0
    .max_flat_workgroup_size: 63
    .name:           bluestein_single_back_len882_dim1_sp_op_CI_CI
    .private_segment_fixed_size: 0
    .sgpr_count:     18
    .sgpr_spill_count: 0
    .symbol:         bluestein_single_back_len882_dim1_sp_op_CI_CI.kd
    .uniform_work_group_size: 1
    .uses_dynamic_stack: false
    .vgpr_count:     144
    .vgpr_spill_count: 0
    .wavefront_size: 32
    .workgroup_processor_mode: 1
amdhsa.target:   amdgcn-amd-amdhsa--gfx1030
amdhsa.version:
  - 1
  - 2
...

	.end_amdgpu_metadata
